;; amdgpu-corpus repo=ROCm/rocFFT kind=compiled arch=gfx1201 opt=O3
	.text
	.amdgcn_target "amdgcn-amd-amdhsa--gfx1201"
	.amdhsa_code_object_version 6
	.protected	fft_rtc_back_len1782_factors_11_3_3_3_3_2_wgs_99_tpt_99_halfLds_sp_op_CI_CI_unitstride_sbrr_R2C_dirReg ; -- Begin function fft_rtc_back_len1782_factors_11_3_3_3_3_2_wgs_99_tpt_99_halfLds_sp_op_CI_CI_unitstride_sbrr_R2C_dirReg
	.globl	fft_rtc_back_len1782_factors_11_3_3_3_3_2_wgs_99_tpt_99_halfLds_sp_op_CI_CI_unitstride_sbrr_R2C_dirReg
	.p2align	8
	.type	fft_rtc_back_len1782_factors_11_3_3_3_3_2_wgs_99_tpt_99_halfLds_sp_op_CI_CI_unitstride_sbrr_R2C_dirReg,@function
fft_rtc_back_len1782_factors_11_3_3_3_3_2_wgs_99_tpt_99_halfLds_sp_op_CI_CI_unitstride_sbrr_R2C_dirReg: ; @fft_rtc_back_len1782_factors_11_3_3_3_3_2_wgs_99_tpt_99_halfLds_sp_op_CI_CI_unitstride_sbrr_R2C_dirReg
; %bb.0:
	s_clause 0x2
	s_load_b128 s[8:11], s[0:1], 0x0
	s_load_b128 s[4:7], s[0:1], 0x58
	;; [unrolled: 1-line block ×3, first 2 shown]
	v_mul_u32_u24_e32 v1, 0x296, v0
	v_mov_b32_e32 v3, 0
	s_delay_alu instid0(VALU_DEP_2) | instskip(NEXT) | instid1(VALU_DEP_1)
	v_lshrrev_b32_e32 v1, 16, v1
	v_add_nc_u32_e32 v5, ttmp9, v1
	v_mov_b32_e32 v1, 0
	v_mov_b32_e32 v2, 0
	;; [unrolled: 1-line block ×3, first 2 shown]
	s_wait_kmcnt 0x0
	v_cmp_lt_u64_e64 s2, s[10:11], 2
	s_delay_alu instid0(VALU_DEP_1)
	s_and_b32 vcc_lo, exec_lo, s2
	s_cbranch_vccnz .LBB0_8
; %bb.1:
	s_load_b64 s[2:3], s[0:1], 0x10
	v_mov_b32_e32 v1, 0
	v_mov_b32_e32 v2, 0
	s_add_nc_u64 s[16:17], s[14:15], 8
	s_add_nc_u64 s[18:19], s[12:13], 8
	s_mov_b64 s[20:21], 1
	s_delay_alu instid0(VALU_DEP_1)
	v_dual_mov_b32 v45, v2 :: v_dual_mov_b32 v44, v1
	s_wait_kmcnt 0x0
	s_add_nc_u64 s[22:23], s[2:3], 8
	s_mov_b32 s3, 0
.LBB0_2:                                ; =>This Inner Loop Header: Depth=1
	s_load_b64 s[24:25], s[22:23], 0x0
                                        ; implicit-def: $vgpr48_vgpr49
	s_mov_b32 s2, exec_lo
	s_wait_kmcnt 0x0
	v_or_b32_e32 v4, s25, v6
	s_delay_alu instid0(VALU_DEP_1)
	v_cmpx_ne_u64_e32 0, v[3:4]
	s_wait_alu 0xfffe
	s_xor_b32 s26, exec_lo, s2
	s_cbranch_execz .LBB0_4
; %bb.3:                                ;   in Loop: Header=BB0_2 Depth=1
	s_cvt_f32_u32 s2, s24
	s_cvt_f32_u32 s27, s25
	s_sub_nc_u64 s[30:31], 0, s[24:25]
	s_wait_alu 0xfffe
	s_delay_alu instid0(SALU_CYCLE_1) | instskip(SKIP_1) | instid1(SALU_CYCLE_2)
	s_fmamk_f32 s2, s27, 0x4f800000, s2
	s_wait_alu 0xfffe
	v_s_rcp_f32 s2, s2
	s_delay_alu instid0(TRANS32_DEP_1) | instskip(SKIP_1) | instid1(SALU_CYCLE_2)
	s_mul_f32 s2, s2, 0x5f7ffffc
	s_wait_alu 0xfffe
	s_mul_f32 s27, s2, 0x2f800000
	s_wait_alu 0xfffe
	s_delay_alu instid0(SALU_CYCLE_2) | instskip(SKIP_1) | instid1(SALU_CYCLE_2)
	s_trunc_f32 s27, s27
	s_wait_alu 0xfffe
	s_fmamk_f32 s2, s27, 0xcf800000, s2
	s_cvt_u32_f32 s29, s27
	s_wait_alu 0xfffe
	s_delay_alu instid0(SALU_CYCLE_1) | instskip(SKIP_1) | instid1(SALU_CYCLE_2)
	s_cvt_u32_f32 s28, s2
	s_wait_alu 0xfffe
	s_mul_u64 s[34:35], s[30:31], s[28:29]
	s_wait_alu 0xfffe
	s_mul_hi_u32 s37, s28, s35
	s_mul_i32 s36, s28, s35
	s_mul_hi_u32 s2, s28, s34
	s_mul_i32 s33, s29, s34
	s_wait_alu 0xfffe
	s_add_nc_u64 s[36:37], s[2:3], s[36:37]
	s_mul_hi_u32 s27, s29, s34
	s_mul_hi_u32 s38, s29, s35
	s_add_co_u32 s2, s36, s33
	s_wait_alu 0xfffe
	s_add_co_ci_u32 s2, s37, s27
	s_mul_i32 s34, s29, s35
	s_add_co_ci_u32 s35, s38, 0
	s_wait_alu 0xfffe
	s_add_nc_u64 s[34:35], s[2:3], s[34:35]
	s_wait_alu 0xfffe
	v_add_co_u32 v4, s2, s28, s34
	s_delay_alu instid0(VALU_DEP_1) | instskip(SKIP_1) | instid1(VALU_DEP_1)
	s_cmp_lg_u32 s2, 0
	s_add_co_ci_u32 s29, s29, s35
	v_readfirstlane_b32 s28, v4
	s_wait_alu 0xfffe
	s_delay_alu instid0(VALU_DEP_1)
	s_mul_u64 s[30:31], s[30:31], s[28:29]
	s_wait_alu 0xfffe
	s_mul_hi_u32 s35, s28, s31
	s_mul_i32 s34, s28, s31
	s_mul_hi_u32 s2, s28, s30
	s_mul_i32 s33, s29, s30
	s_wait_alu 0xfffe
	s_add_nc_u64 s[34:35], s[2:3], s[34:35]
	s_mul_hi_u32 s27, s29, s30
	s_mul_hi_u32 s28, s29, s31
	s_wait_alu 0xfffe
	s_add_co_u32 s2, s34, s33
	s_add_co_ci_u32 s2, s35, s27
	s_mul_i32 s30, s29, s31
	s_add_co_ci_u32 s31, s28, 0
	s_wait_alu 0xfffe
	s_add_nc_u64 s[30:31], s[2:3], s[30:31]
	s_wait_alu 0xfffe
	v_add_co_u32 v4, s2, v4, s30
	s_delay_alu instid0(VALU_DEP_1) | instskip(SKIP_1) | instid1(VALU_DEP_1)
	s_cmp_lg_u32 s2, 0
	s_add_co_ci_u32 s2, s29, s31
	v_mul_hi_u32 v13, v5, v4
	s_wait_alu 0xfffe
	v_mad_co_u64_u32 v[7:8], null, v5, s2, 0
	v_mad_co_u64_u32 v[9:10], null, v6, v4, 0
	;; [unrolled: 1-line block ×3, first 2 shown]
	s_delay_alu instid0(VALU_DEP_3) | instskip(SKIP_1) | instid1(VALU_DEP_4)
	v_add_co_u32 v4, vcc_lo, v13, v7
	s_wait_alu 0xfffd
	v_add_co_ci_u32_e32 v7, vcc_lo, 0, v8, vcc_lo
	s_delay_alu instid0(VALU_DEP_2) | instskip(SKIP_1) | instid1(VALU_DEP_2)
	v_add_co_u32 v4, vcc_lo, v4, v9
	s_wait_alu 0xfffd
	v_add_co_ci_u32_e32 v4, vcc_lo, v7, v10, vcc_lo
	s_wait_alu 0xfffd
	v_add_co_ci_u32_e32 v7, vcc_lo, 0, v12, vcc_lo
	s_delay_alu instid0(VALU_DEP_2) | instskip(SKIP_1) | instid1(VALU_DEP_2)
	v_add_co_u32 v4, vcc_lo, v4, v11
	s_wait_alu 0xfffd
	v_add_co_ci_u32_e32 v9, vcc_lo, 0, v7, vcc_lo
	s_delay_alu instid0(VALU_DEP_2) | instskip(SKIP_1) | instid1(VALU_DEP_3)
	v_mul_lo_u32 v10, s25, v4
	v_mad_co_u64_u32 v[7:8], null, s24, v4, 0
	v_mul_lo_u32 v11, s24, v9
	s_delay_alu instid0(VALU_DEP_2) | instskip(NEXT) | instid1(VALU_DEP_2)
	v_sub_co_u32 v7, vcc_lo, v5, v7
	v_add3_u32 v8, v8, v11, v10
	s_delay_alu instid0(VALU_DEP_1) | instskip(SKIP_1) | instid1(VALU_DEP_1)
	v_sub_nc_u32_e32 v10, v6, v8
	s_wait_alu 0xfffd
	v_subrev_co_ci_u32_e64 v10, s2, s25, v10, vcc_lo
	v_add_co_u32 v11, s2, v4, 2
	s_wait_alu 0xf1ff
	v_add_co_ci_u32_e64 v12, s2, 0, v9, s2
	v_sub_co_u32 v13, s2, v7, s24
	v_sub_co_ci_u32_e32 v8, vcc_lo, v6, v8, vcc_lo
	s_wait_alu 0xf1ff
	v_subrev_co_ci_u32_e64 v10, s2, 0, v10, s2
	s_delay_alu instid0(VALU_DEP_3) | instskip(NEXT) | instid1(VALU_DEP_3)
	v_cmp_le_u32_e32 vcc_lo, s24, v13
	v_cmp_eq_u32_e64 s2, s25, v8
	s_wait_alu 0xfffd
	v_cndmask_b32_e64 v13, 0, -1, vcc_lo
	v_cmp_le_u32_e32 vcc_lo, s25, v10
	s_wait_alu 0xfffd
	v_cndmask_b32_e64 v14, 0, -1, vcc_lo
	v_cmp_le_u32_e32 vcc_lo, s24, v7
	;; [unrolled: 3-line block ×3, first 2 shown]
	s_wait_alu 0xfffd
	v_cndmask_b32_e64 v15, 0, -1, vcc_lo
	v_cmp_eq_u32_e32 vcc_lo, s25, v10
	s_wait_alu 0xf1ff
	s_delay_alu instid0(VALU_DEP_2)
	v_cndmask_b32_e64 v7, v15, v7, s2
	s_wait_alu 0xfffd
	v_cndmask_b32_e32 v10, v14, v13, vcc_lo
	v_add_co_u32 v13, vcc_lo, v4, 1
	s_wait_alu 0xfffd
	v_add_co_ci_u32_e32 v14, vcc_lo, 0, v9, vcc_lo
	s_delay_alu instid0(VALU_DEP_3) | instskip(SKIP_1) | instid1(VALU_DEP_2)
	v_cmp_ne_u32_e32 vcc_lo, 0, v10
	s_wait_alu 0xfffd
	v_cndmask_b32_e32 v8, v14, v12, vcc_lo
	v_cndmask_b32_e32 v10, v13, v11, vcc_lo
	v_cmp_ne_u32_e32 vcc_lo, 0, v7
	s_wait_alu 0xfffd
	s_delay_alu instid0(VALU_DEP_2)
	v_dual_cndmask_b32 v49, v9, v8 :: v_dual_cndmask_b32 v48, v4, v10
.LBB0_4:                                ;   in Loop: Header=BB0_2 Depth=1
	s_wait_alu 0xfffe
	s_and_not1_saveexec_b32 s2, s26
	s_cbranch_execz .LBB0_6
; %bb.5:                                ;   in Loop: Header=BB0_2 Depth=1
	v_cvt_f32_u32_e32 v4, s24
	s_sub_co_i32 s26, 0, s24
	v_mov_b32_e32 v49, v3
	s_delay_alu instid0(VALU_DEP_2) | instskip(NEXT) | instid1(TRANS32_DEP_1)
	v_rcp_iflag_f32_e32 v4, v4
	v_mul_f32_e32 v4, 0x4f7ffffe, v4
	s_delay_alu instid0(VALU_DEP_1) | instskip(SKIP_1) | instid1(VALU_DEP_1)
	v_cvt_u32_f32_e32 v4, v4
	s_wait_alu 0xfffe
	v_mul_lo_u32 v7, s26, v4
	s_delay_alu instid0(VALU_DEP_1) | instskip(NEXT) | instid1(VALU_DEP_1)
	v_mul_hi_u32 v7, v4, v7
	v_add_nc_u32_e32 v4, v4, v7
	s_delay_alu instid0(VALU_DEP_1) | instskip(NEXT) | instid1(VALU_DEP_1)
	v_mul_hi_u32 v4, v5, v4
	v_mul_lo_u32 v7, v4, s24
	v_add_nc_u32_e32 v8, 1, v4
	s_delay_alu instid0(VALU_DEP_2) | instskip(NEXT) | instid1(VALU_DEP_1)
	v_sub_nc_u32_e32 v7, v5, v7
	v_subrev_nc_u32_e32 v9, s24, v7
	v_cmp_le_u32_e32 vcc_lo, s24, v7
	s_wait_alu 0xfffd
	s_delay_alu instid0(VALU_DEP_2) | instskip(NEXT) | instid1(VALU_DEP_1)
	v_dual_cndmask_b32 v7, v7, v9 :: v_dual_cndmask_b32 v4, v4, v8
	v_cmp_le_u32_e32 vcc_lo, s24, v7
	s_delay_alu instid0(VALU_DEP_2) | instskip(SKIP_1) | instid1(VALU_DEP_1)
	v_add_nc_u32_e32 v8, 1, v4
	s_wait_alu 0xfffd
	v_cndmask_b32_e32 v48, v4, v8, vcc_lo
.LBB0_6:                                ;   in Loop: Header=BB0_2 Depth=1
	s_wait_alu 0xfffe
	s_or_b32 exec_lo, exec_lo, s2
	v_mul_lo_u32 v4, v49, s24
	s_delay_alu instid0(VALU_DEP_2)
	v_mul_lo_u32 v9, v48, s25
	s_load_b64 s[26:27], s[18:19], 0x0
	v_mad_co_u64_u32 v[7:8], null, v48, s24, 0
	s_load_b64 s[24:25], s[16:17], 0x0
	s_add_nc_u64 s[20:21], s[20:21], 1
	s_add_nc_u64 s[16:17], s[16:17], 8
	s_wait_alu 0xfffe
	v_cmp_ge_u64_e64 s2, s[20:21], s[10:11]
	s_add_nc_u64 s[18:19], s[18:19], 8
	s_add_nc_u64 s[22:23], s[22:23], 8
	v_add3_u32 v4, v8, v9, v4
	v_sub_co_u32 v5, vcc_lo, v5, v7
	s_wait_alu 0xfffd
	s_delay_alu instid0(VALU_DEP_2) | instskip(SKIP_2) | instid1(VALU_DEP_1)
	v_sub_co_ci_u32_e32 v4, vcc_lo, v6, v4, vcc_lo
	s_and_b32 vcc_lo, exec_lo, s2
	s_wait_kmcnt 0x0
	v_mul_lo_u32 v6, s26, v4
	v_mul_lo_u32 v7, s27, v5
	v_mad_co_u64_u32 v[1:2], null, s26, v5, v[1:2]
	v_mul_lo_u32 v4, s24, v4
	v_mul_lo_u32 v8, s25, v5
	v_mad_co_u64_u32 v[44:45], null, s24, v5, v[44:45]
	s_delay_alu instid0(VALU_DEP_4) | instskip(NEXT) | instid1(VALU_DEP_2)
	v_add3_u32 v2, v7, v2, v6
	v_add3_u32 v45, v8, v45, v4
	s_wait_alu 0xfffe
	s_cbranch_vccnz .LBB0_9
; %bb.7:                                ;   in Loop: Header=BB0_2 Depth=1
	v_dual_mov_b32 v5, v48 :: v_dual_mov_b32 v6, v49
	s_branch .LBB0_2
.LBB0_8:
	v_dual_mov_b32 v45, v2 :: v_dual_mov_b32 v44, v1
	v_dual_mov_b32 v49, v6 :: v_dual_mov_b32 v48, v5
.LBB0_9:
	s_load_b64 s[0:1], s[0:1], 0x28
	v_mul_hi_u32 v3, 0x295fad5, v0
	s_lshl_b64 s[10:11], s[10:11], 3
                                        ; implicit-def: $vgpr46
                                        ; implicit-def: $vgpr50
	s_wait_kmcnt 0x0
	v_cmp_gt_u64_e32 vcc_lo, s[0:1], v[48:49]
	v_cmp_le_u64_e64 s0, s[0:1], v[48:49]
	s_delay_alu instid0(VALU_DEP_1)
	s_and_saveexec_b32 s1, s0
	s_wait_alu 0xfffe
	s_xor_b32 s0, exec_lo, s1
; %bb.10:
	v_mul_u32_u24_e32 v1, 0x63, v3
                                        ; implicit-def: $vgpr3
	s_delay_alu instid0(VALU_DEP_1) | instskip(NEXT) | instid1(VALU_DEP_1)
	v_sub_nc_u32_e32 v46, v0, v1
                                        ; implicit-def: $vgpr0
                                        ; implicit-def: $vgpr1_vgpr2
	v_add_nc_u32_e32 v50, 0x63, v46
; %bb.11:
	s_wait_alu 0xfffe
	s_or_saveexec_b32 s1, s0
	s_add_nc_u64 s[2:3], s[14:15], s[10:11]
	s_wait_alu 0xfffe
	s_xor_b32 exec_lo, exec_lo, s1
	s_cbranch_execz .LBB0_13
; %bb.12:
	s_add_nc_u64 s[10:11], s[12:13], s[10:11]
	v_lshlrev_b64_e32 v[1:2], 3, v[1:2]
	s_load_b64 s[10:11], s[10:11], 0x0
	s_wait_kmcnt 0x0
	v_mul_lo_u32 v6, s11, v48
	v_mul_lo_u32 v7, s10, v49
	v_mad_co_u64_u32 v[4:5], null, s10, v48, 0
	s_delay_alu instid0(VALU_DEP_1) | instskip(SKIP_1) | instid1(VALU_DEP_2)
	v_add3_u32 v5, v5, v7, v6
	v_mul_u32_u24_e32 v6, 0x63, v3
	v_lshlrev_b64_e32 v[3:4], 3, v[4:5]
	s_delay_alu instid0(VALU_DEP_2) | instskip(NEXT) | instid1(VALU_DEP_1)
	v_sub_nc_u32_e32 v46, v0, v6
	v_lshlrev_b32_e32 v36, 3, v46
	s_delay_alu instid0(VALU_DEP_3) | instskip(SKIP_1) | instid1(VALU_DEP_4)
	v_add_co_u32 v0, s0, s4, v3
	s_wait_alu 0xf1ff
	v_add_co_ci_u32_e64 v3, s0, s5, v4, s0
	v_add_nc_u32_e32 v50, 0x63, v46
	s_delay_alu instid0(VALU_DEP_3) | instskip(SKIP_1) | instid1(VALU_DEP_3)
	v_add_co_u32 v0, s0, v0, v1
	s_wait_alu 0xf1ff
	v_add_co_ci_u32_e64 v1, s0, v3, v2, s0
	s_delay_alu instid0(VALU_DEP_2) | instskip(SKIP_1) | instid1(VALU_DEP_2)
	v_add_co_u32 v0, s0, v0, v36
	s_wait_alu 0xf1ff
	v_add_co_ci_u32_e64 v1, s0, 0, v1, s0
	s_clause 0x11
	global_load_b64 v[2:3], v[0:1], off
	global_load_b64 v[4:5], v[0:1], off offset:792
	global_load_b64 v[6:7], v[0:1], off offset:1584
	;; [unrolled: 1-line block ×17, first 2 shown]
	v_add_nc_u32_e32 v36, 0, v36
	s_delay_alu instid0(VALU_DEP_1)
	v_add_nc_u32_e32 v37, 0x400, v36
	v_add_nc_u32_e32 v38, 0x800, v36
	;; [unrolled: 1-line block ×8, first 2 shown]
	s_wait_loadcnt 0x10
	ds_store_2addr_b64 v36, v[2:3], v[4:5] offset1:99
	s_wait_loadcnt 0xe
	ds_store_2addr_b64 v37, v[6:7], v[8:9] offset0:70 offset1:169
	s_wait_loadcnt 0xc
	ds_store_2addr_b64 v38, v[10:11], v[12:13] offset0:140 offset1:239
	;; [unrolled: 2-line block ×8, first 2 shown]
.LBB0_13:
	s_or_b32 exec_lo, exec_lo, s1
	v_lshl_add_u32 v52, v46, 3, 0
	s_load_b64 s[2:3], s[2:3], 0x0
	global_wb scope:SCOPE_SE
	s_wait_dscnt 0x0
	s_wait_kmcnt 0x0
	s_barrier_signal -1
	s_barrier_wait -1
	v_add_nc_u32_e32 v47, 0x400, v52
	global_inv scope:SCOPE_SE
	s_mov_b32 s1, exec_lo
	ds_load_2addr_b64 v[0:3], v52 offset1:99
	ds_load_2addr_b64 v[40:43], v47 offset0:34 offset1:133
	v_add_nc_u32_e32 v53, 0x3000, v52
	v_add_nc_u32_e32 v8, 0xc00, v52
	;; [unrolled: 1-line block ×5, first 2 shown]
	ds_load_2addr_b64 v[4:7], v53 offset0:84 offset1:183
	v_add_nc_u32_e32 v56, 0x1800, v52
	s_wait_dscnt 0x1
	v_dual_add_f32 v59, v1, v41 :: v_dual_add_nc_u32 v10, 0x1c00, v52
	ds_load_2addr_b64 v[32:35], v8 offset0:102 offset1:201
	s_wait_dscnt 0x1
	v_sub_f32_e32 v61, v41, v5
	v_dual_add_f32 v41, v5, v41 :: v_dual_add_f32 v58, v0, v40
	v_add_f32_e32 v60, v4, v40
	s_delay_alu instid0(VALU_DEP_2) | instskip(SKIP_2) | instid1(VALU_DEP_3)
	v_dual_sub_f32 v40, v40, v4 :: v_dual_mul_f32 v67, 0xbe11bafb, v41
	v_mul_f32_e32 v63, 0x3f575c64, v41
	v_mul_f32_e32 v65, 0x3ed4b147, v41
	v_fmamk_f32 v73, v40, 0x3f7d64f0, v67
	v_add_nc_u32_e32 v51, 0x800, v52
	ds_load_2addr_b64 v[36:39], v51 offset0:68 offset1:167
	s_wait_dscnt 0x0
	v_dual_add_f32 v59, v59, v37 :: v_dual_add_nc_u32 v54, 0x2c00, v52
	ds_load_2addr_b64 v[28:31], v9 offset0:136 offset1:235
	ds_load_2addr_b64 v[24:27], v56 offset0:42 offset1:141
	;; [unrolled: 1-line block ×6, first 2 shown]
	global_wb scope:SCOPE_SE
	s_wait_dscnt 0x0
	s_barrier_signal -1
	s_barrier_wait -1
	v_dual_add_f32 v59, v59, v33 :: v_dual_add_f32 v58, v58, v36
	v_mul_f32_e32 v62, 0xbf0a6770, v61
	v_mul_f32_e32 v64, 0xbf68dda4, v61
	global_inv scope:SCOPE_SE
	v_fmamk_f32 v69, v40, 0x3f0a6770, v63
	v_fmac_f32_e32 v63, 0xbf0a6770, v40
	v_mul_f32_e32 v66, 0xbf7d64f0, v61
	v_fmamk_f32 v71, v40, 0x3f68dda4, v65
	v_fmac_f32_e32 v65, 0xbf68dda4, v40
	v_add_f32_e32 v69, v1, v69
	v_add_f32_e32 v63, v1, v63
	v_dual_add_f32 v59, v59, v29 :: v_dual_add_f32 v58, v58, v32
	v_fmamk_f32 v68, v60, 0x3f575c64, v62
	v_fmamk_f32 v72, v60, 0xbe11bafb, v66
	v_fma_f32 v62, 0x3f575c64, v60, -v62
	s_delay_alu instid0(VALU_DEP_4) | instskip(SKIP_3) | instid1(VALU_DEP_4)
	v_dual_add_f32 v59, v59, v25 :: v_dual_add_f32 v58, v58, v28
	v_fmamk_f32 v70, v60, 0x3ed4b147, v64
	v_fma_f32 v64, 0x3ed4b147, v60, -v64
	v_fmac_f32_e32 v67, 0xbf7d64f0, v40
	v_dual_add_f32 v59, v59, v21 :: v_dual_add_f32 v58, v58, v24
	v_add_f32_e32 v62, v0, v62
	v_add_f32_e32 v70, v0, v70
	v_dual_add_f32 v64, v0, v64 :: v_dual_add_f32 v65, v1, v65
	s_delay_alu instid0(VALU_DEP_4) | instskip(SKIP_1) | instid1(VALU_DEP_2)
	v_dual_add_f32 v58, v58, v20 :: v_dual_add_f32 v59, v59, v17
	v_dual_add_f32 v68, v0, v68 :: v_dual_add_f32 v71, v1, v71
	;; [unrolled: 1-line block ×3, first 2 shown]
	s_delay_alu instid0(VALU_DEP_1) | instskip(NEXT) | instid1(VALU_DEP_1)
	v_dual_add_f32 v59, v59, v13 :: v_dual_add_f32 v58, v58, v12
	v_dual_add_f32 v59, v59, v9 :: v_dual_add_f32 v72, v0, v72
	s_delay_alu instid0(VALU_DEP_1) | instskip(SKIP_2) | instid1(VALU_DEP_3)
	v_dual_add_f32 v58, v58, v8 :: v_dual_add_f32 v5, v59, v5
	v_fma_f32 v59, 0xbe11bafb, v60, -v66
	v_add_f32_e32 v66, v1, v73
	v_dual_mul_f32 v73, 0xbf27a4f4, v41 :: v_dual_add_f32 v4, v58, v4
	s_delay_alu instid0(VALU_DEP_3) | instskip(SKIP_1) | instid1(VALU_DEP_3)
	v_dual_mul_f32 v58, 0xbf4178ce, v61 :: v_dual_add_f32 v59, v0, v59
	v_mul_f32_e32 v61, 0xbe903f40, v61
	v_fmamk_f32 v75, v40, 0x3f4178ce, v73
	v_mul_f32_e32 v41, 0xbf75a155, v41
	s_delay_alu instid0(VALU_DEP_4) | instskip(SKIP_2) | instid1(VALU_DEP_3)
	v_fmamk_f32 v74, v60, 0xbf27a4f4, v58
	v_fma_f32 v58, 0xbf27a4f4, v60, -v58
	v_fmamk_f32 v76, v60, 0xbf75a155, v61
	v_add_f32_e32 v74, v0, v74
	s_delay_alu instid0(VALU_DEP_3) | instskip(NEXT) | instid1(VALU_DEP_3)
	v_add_f32_e32 v58, v0, v58
	v_add_f32_e32 v76, v0, v76
	v_fma_f32 v60, 0xbf75a155, v60, -v61
	v_sub_f32_e32 v77, v37, v9
	v_add_f32_e32 v9, v9, v37
	v_add_f32_e32 v37, v8, v36
	v_sub_f32_e32 v8, v36, v8
	v_add_f32_e32 v0, v0, v60
	v_dual_fmac_f32 v73, 0xbf4178ce, v40 :: v_dual_mul_f32 v60, 0xbf4178ce, v77
	v_fmamk_f32 v78, v40, 0x3e903f40, v41
	v_mul_f32_e32 v61, 0xbf68dda4, v77
	v_fmac_f32_e32 v41, 0xbe903f40, v40
	s_delay_alu instid0(VALU_DEP_4) | instskip(SKIP_3) | instid1(VALU_DEP_1)
	v_add_f32_e32 v73, v1, v73
	v_mul_f32_e32 v36, 0x3ed4b147, v9
	v_add_f32_e32 v40, v1, v78
	v_fmamk_f32 v78, v37, 0x3ed4b147, v61
	v_dual_add_f32 v68, v78, v68 :: v_dual_add_f32 v75, v1, v75
	v_add_f32_e32 v1, v1, v41
	v_fmamk_f32 v41, v8, 0x3f68dda4, v36
	v_fmac_f32_e32 v36, 0xbf68dda4, v8
	v_mul_f32_e32 v79, 0xbf75a155, v9
	v_mul_f32_e32 v78, 0xbf27a4f4, v9
	s_delay_alu instid0(VALU_DEP_4) | instskip(SKIP_2) | instid1(VALU_DEP_2)
	v_add_f32_e32 v41, v41, v69
	v_fmamk_f32 v69, v37, 0xbf27a4f4, v60
	v_fma_f32 v60, 0xbf27a4f4, v37, -v60
	v_dual_add_f32 v36, v36, v63 :: v_dual_add_f32 v63, v69, v70
	s_delay_alu instid0(VALU_DEP_2) | instskip(SKIP_2) | instid1(VALU_DEP_2)
	v_add_f32_e32 v60, v60, v64
	v_fma_f32 v61, 0x3ed4b147, v37, -v61
	v_fmamk_f32 v69, v8, 0x3f4178ce, v78
	v_dual_fmac_f32 v78, 0xbf4178ce, v8 :: v_dual_add_f32 v61, v61, v62
	v_mul_f32_e32 v62, 0x3e903f40, v77
	s_delay_alu instid0(VALU_DEP_2) | instskip(NEXT) | instid1(VALU_DEP_2)
	v_add_f32_e32 v64, v78, v65
	v_fmamk_f32 v70, v37, 0xbf75a155, v62
	v_fma_f32 v62, 0xbf75a155, v37, -v62
	s_delay_alu instid0(VALU_DEP_1) | instskip(NEXT) | instid1(VALU_DEP_3)
	v_add_f32_e32 v59, v62, v59
	v_dual_add_f32 v65, v70, v72 :: v_dual_mul_f32 v72, 0xbe11bafb, v9
	v_add_f32_e32 v69, v69, v71
	v_mul_f32_e32 v71, 0x3f7d64f0, v77
	v_mul_f32_e32 v77, 0x3f0a6770, v77
	v_mul_f32_e32 v9, 0x3f575c64, v9
	v_fmamk_f32 v62, v8, 0xbf7d64f0, v72
	v_fmac_f32_e32 v72, 0x3f7d64f0, v8
	s_delay_alu instid0(VALU_DEP_2) | instskip(SKIP_1) | instid1(VALU_DEP_1)
	v_add_f32_e32 v62, v62, v75
	v_fmamk_f32 v70, v8, 0xbe903f40, v79
	v_add_f32_e32 v66, v70, v66
	v_fmamk_f32 v70, v37, 0xbe11bafb, v71
	v_fma_f32 v71, 0xbe11bafb, v37, -v71
	s_delay_alu instid0(VALU_DEP_1) | instskip(NEXT) | instid1(VALU_DEP_1)
	v_dual_fmac_f32 v79, 0x3e903f40, v8 :: v_dual_add_f32 v58, v71, v58
	v_dual_add_f32 v67, v79, v67 :: v_dual_add_f32 v70, v70, v74
	v_fmamk_f32 v74, v37, 0x3f575c64, v77
	v_sub_f32_e32 v71, v33, v13
	s_delay_alu instid0(VALU_DEP_2) | instskip(SKIP_1) | instid1(VALU_DEP_3)
	v_dual_add_f32 v72, v72, v73 :: v_dual_add_f32 v73, v74, v76
	v_fmamk_f32 v74, v8, 0xbf0a6770, v9
	v_dual_add_f32 v75, v12, v32 :: v_dual_mul_f32 v76, 0xbf7d64f0, v71
	v_add_f32_e32 v13, v13, v33
	v_fmac_f32_e32 v9, 0x3f0a6770, v8
	v_sub_f32_e32 v8, v32, v12
	v_fma_f32 v33, 0x3f575c64, v37, -v77
	v_fmamk_f32 v12, v75, 0xbe11bafb, v76
	v_dual_mul_f32 v32, 0xbe11bafb, v13 :: v_dual_add_f32 v37, v74, v40
	v_add_f32_e32 v1, v9, v1
	s_delay_alu instid0(VALU_DEP_4) | instskip(NEXT) | instid1(VALU_DEP_4)
	v_dual_add_f32 v0, v33, v0 :: v_dual_mul_f32 v33, 0x3e903f40, v71
	v_dual_add_f32 v9, v12, v68 :: v_dual_mul_f32 v68, 0xbf75a155, v13
	s_delay_alu instid0(VALU_DEP_4) | instskip(SKIP_1) | instid1(VALU_DEP_2)
	v_fmamk_f32 v12, v8, 0x3f7d64f0, v32
	v_fma_f32 v40, 0xbe11bafb, v75, -v76
	v_dual_add_f32 v12, v12, v41 :: v_dual_fmamk_f32 v41, v75, 0xbf75a155, v33
	s_delay_alu instid0(VALU_DEP_2) | instskip(SKIP_3) | instid1(VALU_DEP_3)
	v_add_f32_e32 v40, v40, v61
	v_fmac_f32_e32 v32, 0xbf7d64f0, v8
	v_mul_f32_e32 v61, 0x3f68dda4, v71
	v_fma_f32 v33, 0xbf75a155, v75, -v33
	v_dual_add_f32 v41, v41, v63 :: v_dual_add_f32 v32, v32, v36
	s_delay_alu instid0(VALU_DEP_2) | instskip(NEXT) | instid1(VALU_DEP_4)
	v_dual_fmamk_f32 v36, v8, 0xbe903f40, v68 :: v_dual_add_f32 v33, v33, v60
	v_fmamk_f32 v63, v75, 0x3ed4b147, v61
	v_fmac_f32_e32 v68, 0x3e903f40, v8
	v_fma_f32 v61, 0x3ed4b147, v75, -v61
	s_delay_alu instid0(VALU_DEP_4)
	v_add_f32_e32 v36, v36, v69
	v_mul_f32_e32 v74, 0x3f575c64, v13
	v_add_f32_e32 v63, v63, v65
	v_dual_mul_f32 v69, 0x3ed4b147, v13 :: v_dual_add_f32 v60, v68, v64
	v_add_f32_e32 v59, v61, v59
	v_mul_f32_e32 v13, 0xbf27a4f4, v13
	s_delay_alu instid0(VALU_DEP_3) | instskip(SKIP_1) | instid1(VALU_DEP_1)
	v_fmamk_f32 v65, v8, 0xbf68dda4, v69
	v_fmac_f32_e32 v69, 0x3f68dda4, v8
	v_add_f32_e32 v61, v69, v67
	v_fmamk_f32 v67, v8, 0x3f0a6770, v74
	v_fmamk_f32 v69, v8, 0x3f4178ce, v13
	v_fmac_f32_e32 v74, 0xbf0a6770, v8
	s_delay_alu instid0(VALU_DEP_3) | instskip(SKIP_1) | instid1(VALU_DEP_1)
	v_add_f32_e32 v62, v67, v62
	v_dual_mul_f32 v64, 0xbf0a6770, v71 :: v_dual_add_f32 v65, v65, v66
	v_dual_add_f32 v37, v69, v37 :: v_dual_fmamk_f32 v68, v75, 0x3f575c64, v64
	v_fma_f32 v64, 0x3f575c64, v75, -v64
	s_delay_alu instid0(VALU_DEP_2) | instskip(SKIP_2) | instid1(VALU_DEP_4)
	v_add_f32_e32 v66, v68, v70
	v_mul_f32_e32 v68, 0xbf4178ce, v71
	v_sub_f32_e32 v70, v29, v17
	v_dual_add_f32 v58, v64, v58 :: v_dual_add_f32 v17, v17, v29
	v_fmac_f32_e32 v13, 0xbf4178ce, v8
	s_delay_alu instid0(VALU_DEP_4) | instskip(NEXT) | instid1(VALU_DEP_3)
	v_dual_fmamk_f32 v67, v75, 0xbf27a4f4, v68 :: v_dual_sub_f32 v8, v28, v16
	v_dual_add_f32 v69, v16, v28 :: v_dual_mul_f32 v16, 0xbf27a4f4, v17
	s_delay_alu instid0(VALU_DEP_2) | instskip(SKIP_1) | instid1(VALU_DEP_1)
	v_dual_add_f32 v64, v74, v72 :: v_dual_add_f32 v67, v67, v73
	v_fma_f32 v68, 0xbf27a4f4, v75, -v68
	v_dual_mul_f32 v29, 0xbf4178ce, v70 :: v_dual_add_f32 v0, v68, v0
	s_delay_alu instid0(VALU_DEP_1) | instskip(SKIP_1) | instid1(VALU_DEP_2)
	v_fmamk_f32 v28, v69, 0xbf27a4f4, v29
	v_fmamk_f32 v68, v8, 0x3f4178ce, v16
	v_dual_fmac_f32 v16, 0xbf4178ce, v8 :: v_dual_add_f32 v9, v28, v9
	v_fma_f32 v28, 0xbf27a4f4, v69, -v29
	s_delay_alu instid0(VALU_DEP_2) | instskip(SKIP_1) | instid1(VALU_DEP_1)
	v_add_f32_e32 v16, v16, v32
	v_mul_f32_e32 v32, 0xbf0a6770, v70
	v_dual_add_f32 v28, v28, v40 :: v_dual_fmamk_f32 v71, v69, 0x3f575c64, v32
	v_fma_f32 v32, 0x3f575c64, v69, -v32
	s_delay_alu instid0(VALU_DEP_1) | instskip(SKIP_1) | instid1(VALU_DEP_1)
	v_dual_add_f32 v32, v32, v59 :: v_dual_add_f32 v1, v13, v1
	v_mul_f32_e32 v13, 0x3f7d64f0, v70
	v_fmamk_f32 v29, v69, 0xbe11bafb, v13
	v_fma_f32 v13, 0xbe11bafb, v69, -v13
	s_delay_alu instid0(VALU_DEP_2) | instskip(SKIP_2) | instid1(VALU_DEP_4)
	v_dual_add_f32 v29, v29, v41 :: v_dual_add_f32 v12, v68, v12
	v_mul_f32_e32 v68, 0xbe11bafb, v17
	v_mul_f32_e32 v41, 0x3f575c64, v17
	v_add_f32_e32 v33, v13, v33
	s_delay_alu instid0(VALU_DEP_2) | instskip(NEXT) | instid1(VALU_DEP_4)
	v_fmamk_f32 v13, v8, 0x3f0a6770, v41
	v_fmamk_f32 v40, v8, 0xbf7d64f0, v68
	v_fmac_f32_e32 v41, 0xbf0a6770, v8
	s_delay_alu instid0(VALU_DEP_3) | instskip(NEXT) | instid1(VALU_DEP_2)
	v_dual_fmac_f32 v68, 0x3f7d64f0, v8 :: v_dual_add_f32 v65, v13, v65
	v_dual_add_f32 v36, v40, v36 :: v_dual_add_f32 v41, v41, v61
	s_delay_alu instid0(VALU_DEP_2) | instskip(SKIP_3) | instid1(VALU_DEP_3)
	v_add_f32_e32 v40, v68, v60
	v_dual_add_f32 v60, v71, v63 :: v_dual_mul_f32 v63, 0xbe903f40, v70
	v_mul_f32_e32 v13, 0xbf75a155, v17
	v_mul_f32_e32 v17, 0x3ed4b147, v17
	v_fmamk_f32 v68, v69, 0xbf75a155, v63
	s_delay_alu instid0(VALU_DEP_3)
	v_fmamk_f32 v61, v8, 0x3e903f40, v13
	v_fmac_f32_e32 v13, 0xbe903f40, v8
	v_mul_f32_e32 v59, 0x3f68dda4, v70
	v_fma_f32 v63, 0xbf75a155, v69, -v63
	v_add_f32_e32 v66, v68, v66
	v_add_f32_e32 v61, v61, v62
	;; [unrolled: 1-line block ×3, first 2 shown]
	v_fmamk_f32 v68, v69, 0x3ed4b147, v59
	v_sub_f32_e32 v64, v25, v21
	v_dual_add_f32 v58, v63, v58 :: v_dual_fmamk_f32 v13, v8, 0xbf68dda4, v17
	v_fma_f32 v59, 0x3ed4b147, v69, -v59
	s_delay_alu instid0(VALU_DEP_4) | instskip(SKIP_4) | instid1(VALU_DEP_4)
	v_add_f32_e32 v63, v68, v67
	v_dual_add_f32 v67, v21, v25 :: v_dual_add_f32 v68, v20, v24
	v_mul_f32_e32 v21, 0xbe903f40, v64
	v_fmac_f32_e32 v17, 0x3f68dda4, v8
	v_sub_f32_e32 v8, v24, v20
	v_dual_mul_f32 v20, 0xbf75a155, v67 :: v_dual_add_f32 v69, v13, v37
	s_delay_alu instid0(VALU_DEP_4) | instskip(SKIP_1) | instid1(VALU_DEP_3)
	v_fmamk_f32 v13, v68, 0xbf75a155, v21
	v_dual_add_f32 v59, v59, v0 :: v_dual_mul_f32 v24, 0x3f575c64, v67
	v_dual_add_f32 v70, v17, v1 :: v_dual_fmamk_f32 v1, v8, 0x3e903f40, v20
	s_delay_alu instid0(VALU_DEP_3) | instskip(SKIP_4) | instid1(VALU_DEP_4)
	v_add_f32_e32 v0, v13, v9
	v_fma_f32 v9, 0xbf75a155, v68, -v21
	v_mul_f32_e32 v17, 0x3f0a6770, v64
	v_fmac_f32_e32 v20, 0xbe903f40, v8
	v_add_f32_e32 v1, v1, v12
	v_add_f32_e32 v12, v9, v28
	v_mul_f32_e32 v9, 0xbf4178ce, v64
	s_delay_alu instid0(VALU_DEP_4) | instskip(SKIP_2) | instid1(VALU_DEP_4)
	v_add_f32_e32 v13, v20, v16
	v_fmamk_f32 v20, v8, 0xbf0a6770, v24
	v_fmac_f32_e32 v24, 0x3f0a6770, v8
	v_fmamk_f32 v25, v68, 0xbf27a4f4, v9
	v_fma_f32 v9, 0xbf27a4f4, v68, -v9
	s_delay_alu instid0(VALU_DEP_1) | instskip(NEXT) | instid1(VALU_DEP_1)
	v_dual_fmamk_f32 v21, v68, 0x3f575c64, v17 :: v_dual_add_f32 v28, v9, v32
	v_add_f32_e32 v16, v21, v29
	v_fma_f32 v21, 0x3f575c64, v68, -v17
	v_mul_f32_e32 v29, 0xbf27a4f4, v67
	s_delay_alu instid0(VALU_DEP_2) | instskip(SKIP_1) | instid1(VALU_DEP_3)
	v_dual_add_f32 v17, v20, v36 :: v_dual_add_f32 v20, v21, v33
	v_add_f32_e32 v21, v24, v40
	v_dual_add_f32 v24, v25, v60 :: v_dual_fmamk_f32 v25, v8, 0x3f4178ce, v29
	v_mul_f32_e32 v33, 0x3f68dda4, v64
	v_fmac_f32_e32 v29, 0xbf4178ce, v8
	v_mul_f32_e32 v37, 0x3ed4b147, v67
	s_delay_alu instid0(VALU_DEP_4) | instskip(NEXT) | instid1(VALU_DEP_3)
	v_dual_mul_f32 v60, 0xbe11bafb, v67 :: v_dual_add_f32 v25, v25, v65
	v_dual_fmamk_f32 v36, v68, 0x3ed4b147, v33 :: v_dual_add_f32 v29, v29, v41
	s_delay_alu instid0(VALU_DEP_3) | instskip(SKIP_1) | instid1(VALU_DEP_3)
	v_fmamk_f32 v9, v8, 0xbf68dda4, v37
	v_fma_f32 v40, 0x3ed4b147, v68, -v33
	v_dual_mul_f32 v41, 0xbf7d64f0, v64 :: v_dual_add_f32 v32, v36, v66
	v_fmac_f32_e32 v37, 0x3f68dda4, v8
	s_delay_alu instid0(VALU_DEP_3) | instskip(SKIP_1) | instid1(VALU_DEP_4)
	v_dual_add_f32 v33, v9, v61 :: v_dual_add_f32 v36, v40, v58
	v_fmamk_f32 v58, v8, 0x3f7d64f0, v60
	v_fmamk_f32 v9, v68, 0xbe11bafb, v41
	v_fma_f32 v61, 0xbe11bafb, v68, -v41
	v_dual_fmac_f32 v60, 0xbf7d64f0, v8 :: v_dual_add_f32 v37, v37, v62
	v_mad_u32_u24 v8, 0x50, v46, v52
	s_delay_alu instid0(VALU_DEP_4) | instskip(NEXT) | instid1(VALU_DEP_3)
	v_dual_add_f32 v40, v9, v63 :: v_dual_add_f32 v41, v58, v69
	v_dual_add_f32 v58, v61, v59 :: v_dual_add_f32 v59, v60, v70
	ds_store_2addr_b64 v8, v[4:5], v[0:1] offset1:1
	ds_store_2addr_b64 v8, v[16:17], v[24:25] offset0:2 offset1:3
	ds_store_2addr_b64 v8, v[32:33], v[40:41] offset0:4 offset1:5
	;; [unrolled: 1-line block ×4, first 2 shown]
	ds_store_b64 v8, v[12:13] offset:80
	v_cmpx_gt_u32_e32 63, v46
	s_cbranch_execz .LBB0_15
; %bb.14:
	v_dual_add_f32 v69, v7, v43 :: v_dual_sub_f32 v16, v42, v6
	v_dual_add_f32 v70, v11, v39 :: v_dual_sub_f32 v13, v34, v14
	v_dual_sub_f32 v12, v38, v10 :: v_dual_add_f32 v71, v15, v35
	s_delay_alu instid0(VALU_DEP_3) | instskip(SKIP_1) | instid1(VALU_DEP_4)
	v_dual_mul_f32 v72, 0xbf75a155, v69 :: v_dual_add_f32 v73, v19, v31
	v_sub_f32_e32 v9, v30, v18
	v_dual_mul_f32 v74, 0x3f575c64, v70 :: v_dual_sub_f32 v75, v43, v7
	s_delay_alu instid0(VALU_DEP_3) | instskip(NEXT) | instid1(VALU_DEP_2)
	v_dual_fmamk_f32 v0, v16, 0x3e903f40, v72 :: v_dual_add_f32 v17, v6, v42
	v_dual_sub_f32 v76, v39, v11 :: v_dual_fmamk_f32 v1, v12, 0xbf0a6770, v74
	v_dual_mul_f32 v32, 0x3ed4b147, v73 :: v_dual_add_f32 v77, v23, v27
	s_delay_alu instid0(VALU_DEP_3) | instskip(SKIP_1) | instid1(VALU_DEP_4)
	v_dual_add_f32 v0, v3, v0 :: v_dual_mul_f32 v41, 0xbf27a4f4, v71
	v_mul_f32_e32 v58, 0xbe903f40, v75
	v_dual_add_f32 v20, v10, v38 :: v_dual_mul_f32 v33, 0x3f0a6770, v76
	s_delay_alu instid0(VALU_DEP_3) | instskip(NEXT) | instid1(VALU_DEP_4)
	v_add_f32_e32 v0, v1, v0
	v_dual_fmamk_f32 v4, v13, 0x3f4178ce, v41 :: v_dual_sub_f32 v79, v31, v19
	v_fmamk_f32 v1, v9, 0xbf68dda4, v32
	v_dual_fmamk_f32 v5, v17, 0xbf75a155, v58 :: v_dual_sub_f32 v78, v35, v15
	s_delay_alu instid0(VALU_DEP_3) | instskip(SKIP_1) | instid1(VALU_DEP_3)
	v_add_f32_e32 v0, v4, v0
	v_dual_fmamk_f32 v4, v20, 0x3f575c64, v33 :: v_dual_sub_f32 v21, v26, v22
	v_add_f32_e32 v5, v2, v5
	v_add_f32_e32 v24, v14, v34
	s_delay_alu instid0(VALU_DEP_4) | instskip(SKIP_1) | instid1(VALU_DEP_4)
	v_dual_add_f32 v0, v1, v0 :: v_dual_mul_f32 v29, 0xbf4178ce, v78
	v_dual_mul_f32 v40, 0xbe11bafb, v77 :: v_dual_add_f32 v25, v18, v30
	v_dual_add_f32 v1, v4, v5 :: v_dual_sub_f32 v80, v27, v23
	v_mul_f32_e32 v64, 0xbf75a155, v73
	s_delay_alu instid0(VALU_DEP_3) | instskip(SKIP_3) | instid1(VALU_DEP_3)
	v_fmamk_f32 v5, v21, 0x3f7d64f0, v40
	v_fmamk_f32 v4, v24, 0xbf27a4f4, v29
	v_add_f32_e32 v42, v2, v42
	v_dual_add_f32 v28, v22, v26 :: v_dual_mul_f32 v37, 0xbf7d64f0, v80
	v_dual_fmamk_f32 v81, v9, 0x3e903f40, v64 :: v_dual_add_f32 v4, v4, v1
	v_mul_f32_e32 v61, 0xbe11bafb, v70
	v_add_f32_e32 v1, v5, v0
	s_delay_alu instid0(VALU_DEP_4)
	v_fmamk_f32 v5, v28, 0xbe11bafb, v37
	v_mul_f32_e32 v66, 0x3f7d64f0, v76
	v_mul_f32_e32 v68, 0xbe903f40, v79
	v_fmamk_f32 v60, v12, 0xbf7d64f0, v61
	v_mul_f32_e32 v62, 0xbf27a4f4, v69
	v_mul_f32_e32 v83, 0xbf7d64f0, v75
	;; [unrolled: 1-line block ×5, first 2 shown]
	v_fmamk_f32 v0, v16, 0x3f4178ce, v62
	v_mul_f32_e32 v36, 0x3f68dda4, v79
	v_fmamk_f32 v84, v17, 0xbe11bafb, v83
	v_fmamk_f32 v82, v25, 0xbf75a155, v68
	v_mul_f32_e32 v67, 0xbf0a6770, v78
	v_fmac_f32_e32 v40, 0xbf7d64f0, v21
	v_fmamk_f32 v59, v25, 0x3ed4b147, v36
	v_dual_add_f32 v43, v3, v43 :: v_dual_fmac_f32 v72, 0xbe903f40, v16
	v_add_f32_e32 v38, v42, v38
	v_dual_mul_f32 v42, 0x3f68dda4, v80 :: v_dual_mul_f32 v87, 0x3f68dda4, v78
	s_delay_alu instid0(VALU_DEP_4) | instskip(SKIP_2) | instid1(VALU_DEP_3)
	v_dual_add_f32 v4, v59, v4 :: v_dual_mul_f32 v65, 0xbf4178ce, v75
	v_add_f32_e32 v59, v3, v0
	v_add_f32_e32 v39, v43, v39
	v_dual_mul_f32 v75, 0xbf0a6770, v75 :: v_dual_add_f32 v0, v5, v4
	s_delay_alu instid0(VALU_DEP_3) | instskip(NEXT) | instid1(VALU_DEP_3)
	v_dual_fmamk_f32 v4, v17, 0xbf27a4f4, v65 :: v_dual_add_f32 v5, v60, v59
	v_dual_fmamk_f32 v60, v20, 0xbe11bafb, v66 :: v_dual_add_f32 v35, v39, v35
	v_fmac_f32_e32 v64, 0xbe903f40, v9
	s_delay_alu instid0(VALU_DEP_3) | instskip(NEXT) | instid1(VALU_DEP_3)
	v_dual_add_f32 v4, v2, v4 :: v_dual_mul_f32 v63, 0x3f575c64, v71
	v_dual_add_f32 v34, v38, v34 :: v_dual_add_f32 v31, v35, v31
	v_add_f32_e32 v39, v2, v84
	s_delay_alu instid0(VALU_DEP_3)
	v_add_f32_e32 v4, v60, v4
	v_fmamk_f32 v60, v24, 0x3f575c64, v67
	v_fmamk_f32 v59, v13, 0x3f0a6770, v63
	;; [unrolled: 1-line block ×3, first 2 shown]
	v_add_f32_e32 v30, v34, v30
	v_dual_fmamk_f32 v34, v24, 0x3ed4b147, v87 :: v_dual_add_f32 v31, v31, v27
	s_delay_alu instid0(VALU_DEP_4) | instskip(SKIP_3) | instid1(VALU_DEP_4)
	v_dual_add_f32 v4, v60, v4 :: v_dual_add_f32 v5, v59, v5
	v_mul_f32_e32 v59, 0x3ed4b147, v77
	v_mul_f32_e32 v60, 0xbe11bafb, v69
	;; [unrolled: 1-line block ×3, first 2 shown]
	v_dual_add_f32 v4, v82, v4 :: v_dual_add_f32 v5, v81, v5
	s_delay_alu instid0(VALU_DEP_4) | instskip(SKIP_1) | instid1(VALU_DEP_4)
	v_fmamk_f32 v81, v21, 0xbf68dda4, v59
	v_dual_mul_f32 v35, 0xbf0a6770, v79 :: v_dual_add_f32 v30, v30, v26
	v_fmamk_f32 v84, v20, 0xbf75a155, v85
	s_delay_alu instid0(VALU_DEP_3) | instskip(SKIP_1) | instid1(VALU_DEP_3)
	v_dual_mul_f32 v82, 0xbf75a155, v70 :: v_dual_add_f32 v5, v81, v5
	v_dual_fmamk_f32 v81, v16, 0x3f7d64f0, v60 :: v_dual_add_f32 v4, v86, v4
	v_dual_add_f32 v39, v84, v39 :: v_dual_mul_f32 v86, 0x3ed4b147, v69
	v_mul_f32_e32 v84, 0x3f575c64, v73
	s_delay_alu instid0(VALU_DEP_3) | instskip(NEXT) | instid1(VALU_DEP_3)
	v_add_f32_e32 v43, v3, v81
	v_dual_fmamk_f32 v81, v12, 0xbe903f40, v82 :: v_dual_add_f32 v34, v34, v39
	v_fmamk_f32 v39, v25, 0x3f575c64, v35
	v_fmamk_f32 v89, v16, 0x3f68dda4, v86
	v_mul_f32_e32 v38, 0x3ed4b147, v71
	s_delay_alu instid0(VALU_DEP_4) | instskip(SKIP_4) | instid1(VALU_DEP_3)
	v_dual_add_f32 v43, v81, v43 :: v_dual_mul_f32 v90, 0xbf27a4f4, v70
	v_add_f32_e32 v23, v31, v23
	v_dual_add_f32 v34, v39, v34 :: v_dual_mul_f32 v39, 0xbf4178ce, v80
	v_dual_add_f32 v22, v30, v22 :: v_dual_add_f32 v89, v3, v89
	v_fmamk_f32 v81, v13, 0xbf68dda4, v38
	v_dual_add_f32 v23, v23, v19 :: v_dual_fmamk_f32 v26, v28, 0xbf27a4f4, v39
	v_fmamk_f32 v91, v12, 0x3f4178ce, v90
	v_mul_f32_e32 v69, 0x3f575c64, v69
	s_delay_alu instid0(VALU_DEP_4) | instskip(NEXT) | instid1(VALU_DEP_4)
	v_add_f32_e32 v43, v81, v43
	v_dual_fmamk_f32 v81, v9, 0x3f0a6770, v84 :: v_dual_add_f32 v26, v26, v34
	s_delay_alu instid0(VALU_DEP_4) | instskip(SKIP_1) | instid1(VALU_DEP_3)
	v_dual_add_f32 v34, v91, v89 :: v_dual_mul_f32 v89, 0xbf4178ce, v76
	v_dual_mul_f32 v70, 0x3ed4b147, v70 :: v_dual_add_f32 v23, v23, v15
	v_dual_add_f32 v43, v81, v43 :: v_dual_mul_f32 v88, 0xbf27a4f4, v77
	v_mul_f32_e32 v77, 0xbf75a155, v77
	v_mul_f32_e32 v91, 0x3e903f40, v78
	;; [unrolled: 1-line block ×3, first 2 shown]
	s_delay_alu instid0(VALU_DEP_4) | instskip(SKIP_2) | instid1(VALU_DEP_3)
	v_dual_add_f32 v22, v22, v18 :: v_dual_fmamk_f32 v81, v21, 0x3f4178ce, v88
	v_dual_mul_f32 v76, 0xbf68dda4, v76 :: v_dual_add_f32 v11, v23, v11
	v_fmac_f32_e32 v63, 0xbf0a6770, v13
	v_dual_mul_f32 v78, 0xbf7d64f0, v78 :: v_dual_add_f32 v27, v81, v43
	s_delay_alu instid0(VALU_DEP_3) | instskip(NEXT) | instid1(VALU_DEP_4)
	v_dual_fmamk_f32 v81, v17, 0x3ed4b147, v93 :: v_dual_fmamk_f32 v96, v20, 0x3ed4b147, v76
	v_add_f32_e32 v7, v11, v7
	v_fma_f32 v23, 0x3f575c64, v20, -v33
	s_delay_alu instid0(VALU_DEP_3)
	v_dual_fmac_f32 v61, 0x3f7d64f0, v12 :: v_dual_add_f32 v30, v2, v81
	v_fmamk_f32 v81, v20, 0xbf27a4f4, v89
	v_mul_f32_e32 v71, 0xbe11bafb, v71
	v_fmac_f32_e32 v86, 0xbf68dda4, v16
	v_mul_f32_e32 v80, 0xbe903f40, v80
	v_fmac_f32_e32 v90, 0xbf4178ce, v12
	v_dual_add_f32 v30, v81, v30 :: v_dual_fmamk_f32 v81, v24, 0xbf75a155, v91
	v_fmamk_f32 v43, v13, 0xbe903f40, v92
	v_mul_f32_e32 v31, 0xbe11bafb, v73
	v_fmac_f32_e32 v92, 0x3e903f40, v13
	v_fma_f32 v11, 0xbf75a155, v17, -v58
	v_add_f32_e32 v30, v81, v30
	s_delay_alu instid0(VALU_DEP_4)
	v_dual_add_f32 v34, v43, v34 :: v_dual_fmamk_f32 v43, v9, 0xbf7d64f0, v31
	v_fma_f32 v33, 0x3ed4b147, v28, -v42
	v_fmac_f32_e32 v84, 0xbf0a6770, v9
	v_add_f32_e32 v72, v3, v72
	v_fmac_f32_e32 v82, 0x3e903f40, v12
	v_dual_add_f32 v34, v43, v34 :: v_dual_mul_f32 v43, 0x3f7d64f0, v79
	v_fmac_f32_e32 v38, 0x3f68dda4, v13
	v_fmac_f32_e32 v88, 0xbf4178ce, v21
	v_dual_add_f32 v22, v22, v14 :: v_dual_fmac_f32 v59, 0x3f68dda4, v21
	s_delay_alu instid0(VALU_DEP_4) | instskip(SKIP_1) | instid1(VALU_DEP_3)
	v_fmamk_f32 v18, v25, 0xbe11bafb, v43
	v_fmac_f32_e32 v74, 0x3f0a6770, v12
	v_dual_fmac_f32 v31, 0x3f7d64f0, v9 :: v_dual_add_f32 v10, v22, v10
	s_delay_alu instid0(VALU_DEP_3) | instskip(SKIP_1) | instid1(VALU_DEP_4)
	v_add_f32_e32 v18, v18, v30
	v_fmamk_f32 v30, v28, 0x3f575c64, v95
	v_add_f32_e32 v72, v74, v72
	s_delay_alu instid0(VALU_DEP_4) | instskip(NEXT) | instid1(VALU_DEP_3)
	v_add_f32_e32 v6, v10, v6
	v_add_f32_e32 v18, v30, v18
	v_fmamk_f32 v30, v17, 0x3f575c64, v75
	s_delay_alu instid0(VALU_DEP_1) | instskip(NEXT) | instid1(VALU_DEP_1)
	v_dual_fmamk_f32 v81, v21, 0xbf0a6770, v94 :: v_dual_add_f32 v30, v2, v30
	v_dual_add_f32 v19, v81, v34 :: v_dual_fmamk_f32 v34, v16, 0x3f0a6770, v69
	v_fmamk_f32 v81, v12, 0x3f68dda4, v70
	v_fmac_f32_e32 v70, 0xbf68dda4, v12
	s_delay_alu instid0(VALU_DEP_4) | instskip(SKIP_4) | instid1(VALU_DEP_4)
	v_add_f32_e32 v30, v96, v30
	v_fmamk_f32 v96, v24, 0xbe11bafb, v78
	v_add_f32_e32 v34, v3, v34
	v_fmac_f32_e32 v94, 0x3f0a6770, v21
	v_fma_f32 v12, 0x3ed4b147, v20, -v76
	v_dual_fmac_f32 v69, 0xbf0a6770, v16 :: v_dual_add_f32 v30, v96, v30
	s_delay_alu instid0(VALU_DEP_4) | instskip(SKIP_3) | instid1(VALU_DEP_3)
	v_add_f32_e32 v34, v81, v34
	v_fmamk_f32 v81, v13, 0x3f7d64f0, v71
	v_mul_f32_e32 v73, 0xbf27a4f4, v73
	v_fmac_f32_e32 v62, 0xbf4178ce, v16
	v_dual_fmac_f32 v71, 0xbf7d64f0, v13 :: v_dual_add_f32 v34, v81, v34
	s_delay_alu instid0(VALU_DEP_3) | instskip(SKIP_1) | instid1(VALU_DEP_2)
	v_fmamk_f32 v81, v9, 0x3f4178ce, v73
	v_mul_f32_e32 v79, 0xbf4178ce, v79
	v_dual_fmac_f32 v73, 0xbf4178ce, v9 :: v_dual_add_f32 v34, v81, v34
	s_delay_alu instid0(VALU_DEP_2) | instskip(NEXT) | instid1(VALU_DEP_1)
	v_fmamk_f32 v81, v25, 0xbf27a4f4, v79
	v_add_f32_e32 v30, v81, v30
	v_fmamk_f32 v96, v21, 0x3e903f40, v77
	v_fmamk_f32 v81, v28, 0xbf75a155, v80
	v_fmac_f32_e32 v41, 0xbf4178ce, v13
	v_fmac_f32_e32 v77, 0xbe903f40, v21
	s_delay_alu instid0(VALU_DEP_4) | instskip(NEXT) | instid1(VALU_DEP_4)
	v_add_f32_e32 v15, v96, v34
	v_add_f32_e32 v14, v81, v30
	;; [unrolled: 1-line block ×5, first 2 shown]
	s_delay_alu instid0(VALU_DEP_3) | instskip(NEXT) | instid1(VALU_DEP_1)
	v_add_f32_e32 v34, v90, v34
	v_add_f32_e32 v34, v92, v34
	v_fmac_f32_e32 v32, 0x3f68dda4, v9
	v_fma_f32 v9, 0xbf27a4f4, v25, -v79
	v_fmac_f32_e32 v60, 0xbf7d64f0, v16
	v_fma_f32 v16, 0x3f575c64, v17, -v75
	v_add_f32_e32 v31, v31, v34
	v_add_f32_e32 v10, v32, v22
	;; [unrolled: 1-line block ×3, first 2 shown]
	v_fma_f32 v32, 0xbf75a155, v25, -v68
	s_delay_alu instid0(VALU_DEP_3) | instskip(SKIP_1) | instid1(VALU_DEP_4)
	v_add_f32_e32 v11, v40, v10
	v_fma_f32 v10, 0xbf27a4f4, v17, -v65
	v_add_f32_e32 v22, v23, v22
	v_fma_f32 v23, 0xbf27a4f4, v24, -v29
	;; [unrolled: 2-line block ×3, first 2 shown]
	v_add_f32_e32 v10, v2, v10
	s_delay_alu instid0(VALU_DEP_4) | instskip(SKIP_1) | instid1(VALU_DEP_3)
	v_add_f32_e32 v22, v23, v22
	v_fma_f32 v23, 0x3ed4b147, v25, -v36
	v_dual_add_f32 v29, v63, v29 :: v_dual_add_f32 v10, v30, v10
	v_fma_f32 v30, 0x3f575c64, v24, -v67
	s_delay_alu instid0(VALU_DEP_3) | instskip(SKIP_1) | instid1(VALU_DEP_3)
	v_add_f32_e32 v22, v23, v22
	v_fma_f32 v23, 0xbe11bafb, v28, -v37
	v_dual_add_f32 v29, v64, v29 :: v_dual_add_f32 v30, v30, v10
	s_delay_alu instid0(VALU_DEP_2) | instskip(SKIP_1) | instid1(VALU_DEP_3)
	v_add_f32_e32 v10, v23, v22
	v_fma_f32 v22, 0xbe11bafb, v17, -v83
	v_add_f32_e32 v23, v59, v29
	s_delay_alu instid0(VALU_DEP_4) | instskip(SKIP_1) | instid1(VALU_DEP_4)
	v_add_f32_e32 v29, v32, v30
	v_fma_f32 v32, 0xbf75a155, v20, -v85
	v_add_f32_e32 v22, v2, v22
	s_delay_alu instid0(VALU_DEP_1) | instskip(SKIP_1) | instid1(VALU_DEP_1)
	v_add_f32_e32 v22, v32, v22
	v_fma_f32 v32, 0x3ed4b147, v24, -v87
	v_add_f32_e32 v22, v32, v22
	v_fma_f32 v32, 0x3f575c64, v25, -v35
	v_fma_f32 v35, 0xbf27a4f4, v28, -v39
	s_delay_alu instid0(VALU_DEP_2) | instskip(NEXT) | instid1(VALU_DEP_1)
	v_add_f32_e32 v32, v32, v22
	v_dual_add_f32 v22, v33, v29 :: v_dual_add_f32 v29, v35, v32
	v_fma_f32 v32, 0x3ed4b147, v17, -v93
	s_delay_alu instid0(VALU_DEP_1) | instskip(SKIP_3) | instid1(VALU_DEP_3)
	v_add_f32_e32 v17, v2, v32
	v_add_f32_e32 v2, v2, v16
	v_fma_f32 v32, 0xbf27a4f4, v20, -v89
	v_mad_i32_i24 v20, 0x58, v50, 0
	v_add_f32_e32 v2, v12, v2
	v_fma_f32 v12, 0xbe11bafb, v24, -v78
	s_delay_alu instid0(VALU_DEP_4) | instskip(SKIP_1) | instid1(VALU_DEP_1)
	v_add_f32_e32 v16, v32, v17
	v_fma_f32 v17, 0xbf75a155, v24, -v91
	v_dual_add_f32 v2, v12, v2 :: v_dual_add_f32 v13, v17, v16
	v_fma_f32 v16, 0xbe11bafb, v25, -v43
	v_fma_f32 v17, 0xbf75a155, v28, -v80
	s_delay_alu instid0(VALU_DEP_3) | instskip(SKIP_1) | instid1(VALU_DEP_4)
	v_dual_add_f32 v9, v9, v2 :: v_dual_add_f32 v30, v3, v60
	v_add_f32_e32 v3, v3, v69
	v_add_f32_e32 v12, v16, v13
	v_fma_f32 v13, 0x3f575c64, v28, -v95
	s_delay_alu instid0(VALU_DEP_4) | instskip(NEXT) | instid1(VALU_DEP_2)
	v_add_f32_e32 v30, v82, v30
	v_dual_add_f32 v3, v70, v3 :: v_dual_add_f32 v2, v13, v12
	v_add_f32_e32 v12, v17, v9
	s_delay_alu instid0(VALU_DEP_2) | instskip(NEXT) | instid1(VALU_DEP_1)
	v_dual_add_f32 v30, v38, v30 :: v_dual_add_f32 v3, v71, v3
	v_add_f32_e32 v30, v84, v30
	s_delay_alu instid0(VALU_DEP_2) | instskip(NEXT) | instid1(VALU_DEP_2)
	v_add_f32_e32 v16, v73, v3
	v_dual_add_f32 v3, v94, v31 :: v_dual_add_f32 v30, v88, v30
	s_delay_alu instid0(VALU_DEP_2)
	v_add_f32_e32 v13, v77, v16
	ds_store_2addr_b64 v20, v[6:7], v[14:15] offset1:1
	ds_store_2addr_b64 v20, v[18:19], v[26:27] offset0:2 offset1:3
	ds_store_2addr_b64 v20, v[4:5], v[0:1] offset0:4 offset1:5
	ds_store_2addr_b64 v20, v[10:11], v[22:23] offset0:6 offset1:7
	ds_store_2addr_b64 v20, v[29:30], v[2:3] offset0:8 offset1:9
	ds_store_b64 v20, v[12:13] offset:80
.LBB0_15:
	s_wait_alu 0xfffe
	s_or_b32 exec_lo, exec_lo, s1
	v_add_nc_u32_e32 v43, 0x129, v46
	v_add_nc_u32_e32 v58, 0x18c, v46
	;; [unrolled: 1-line block ×3, first 2 shown]
	global_wb scope:SCOPE_SE
	s_wait_dscnt 0x0
	s_barrier_signal -1
	v_and_b32_e32 v59, 0xffff, v43
	v_and_b32_e32 v60, 0xffff, v58
	v_and_b32_e32 v61, 0xffff, v41
	s_barrier_wait -1
	global_inv scope:SCOPE_SE
	v_mul_u32_u24_e32 v0, 0xba2f, v59
	v_mul_u32_u24_e32 v1, 0xba2f, v60
	v_mad_i32_i24 v36, 0xffffffb0, v46, v8
	v_lshl_add_u32 v37, v50, 3, 0
	s_delay_alu instid0(VALU_DEP_4) | instskip(SKIP_2) | instid1(VALU_DEP_3)
	v_lshrrev_b32_e32 v69, 19, v0
	v_mul_u32_u24_e32 v0, 0xba2f, v61
	v_lshrrev_b32_e32 v70, 19, v1
	v_mul_lo_u16 v1, v69, 11
	s_delay_alu instid0(VALU_DEP_3) | instskip(NEXT) | instid1(VALU_DEP_3)
	v_lshrrev_b32_e32 v71, 19, v0
	v_mul_lo_u16 v0, v70, 11
	v_mul_u32_u24_e32 v109, 0x108, v70
	v_mul_u32_u24_e32 v108, 0x108, v69
	v_sub_nc_u16 v1, v43, v1
	v_mul_lo_u16 v3, v71, 11
	v_sub_nc_u16 v0, v58, v0
	v_mul_u32_u24_e32 v107, 0x108, v71
	s_delay_alu instid0(VALU_DEP_4) | instskip(NEXT) | instid1(VALU_DEP_4)
	v_and_b32_e32 v72, 0xffff, v1
	v_sub_nc_u16 v1, v41, v3
	s_delay_alu instid0(VALU_DEP_4) | instskip(NEXT) | instid1(VALU_DEP_3)
	v_and_b32_e32 v73, 0xffff, v0
	v_lshlrev_b32_e32 v0, 4, v72
	s_delay_alu instid0(VALU_DEP_3) | instskip(NEXT) | instid1(VALU_DEP_3)
	v_and_b32_e32 v74, 0xffff, v1
	v_lshlrev_b32_e32 v1, 4, v73
	s_clause 0x1
	global_load_b128 v[20:23], v0, s[8:9]
	global_load_b128 v[12:15], v1, s[8:9]
	v_add_nc_u32_e32 v42, 0x1ef, v46
	s_delay_alu instid0(VALU_DEP_1) | instskip(NEXT) | instid1(VALU_DEP_1)
	v_and_b32_e32 v62, 0xffff, v42
	v_mul_u32_u24_e32 v2, 0xba2f, v62
	s_delay_alu instid0(VALU_DEP_1) | instskip(NEXT) | instid1(VALU_DEP_1)
	v_lshrrev_b32_e32 v75, 19, v2
	v_mul_lo_u16 v2, v75, 11
	v_mul_u32_u24_e32 v75, 0x108, v75
	s_delay_alu instid0(VALU_DEP_2) | instskip(SKIP_1) | instid1(VALU_DEP_2)
	v_sub_nc_u16 v0, v42, v2
	v_lshlrev_b32_e32 v2, 4, v74
	v_and_b32_e32 v76, 0xffff, v0
	global_load_b128 v[16:19], v2, s[8:9]
	v_lshlrev_b32_e32 v0, 4, v76
	global_load_b128 v[24:27], v0, s[8:9]
	v_and_b32_e32 v63, 0xff, v50
	v_and_b32_e32 v64, 0xff, v46
	v_add_nc_u32_e32 v38, 0x1400, v52
	s_delay_alu instid0(VALU_DEP_3) | instskip(NEXT) | instid1(VALU_DEP_3)
	v_mul_lo_u16 v0, 0x75, v63
	v_mul_lo_u16 v1, 0x75, v64
	s_delay_alu instid0(VALU_DEP_2) | instskip(NEXT) | instid1(VALU_DEP_2)
	v_lshrrev_b16 v0, 8, v0
	v_lshrrev_b16 v1, 8, v1
	s_delay_alu instid0(VALU_DEP_2) | instskip(NEXT) | instid1(VALU_DEP_2)
	v_sub_nc_u16 v2, v50, v0
	v_sub_nc_u16 v3, v46, v1
	s_delay_alu instid0(VALU_DEP_2) | instskip(NEXT) | instid1(VALU_DEP_2)
	v_lshrrev_b16 v2, 1, v2
	v_lshrrev_b16 v3, 1, v3
	s_delay_alu instid0(VALU_DEP_2) | instskip(NEXT) | instid1(VALU_DEP_2)
	v_and_b32_e32 v2, 0x7f, v2
	v_and_b32_e32 v3, 0x7f, v3
	s_delay_alu instid0(VALU_DEP_2) | instskip(NEXT) | instid1(VALU_DEP_2)
	v_add_nc_u16 v0, v2, v0
	v_add_nc_u16 v1, v3, v1
	s_delay_alu instid0(VALU_DEP_2) | instskip(NEXT) | instid1(VALU_DEP_2)
	v_lshrrev_b16 v78, 3, v0
	v_lshrrev_b16 v80, 3, v1
	s_delay_alu instid0(VALU_DEP_2) | instskip(NEXT) | instid1(VALU_DEP_2)
	v_mul_lo_u16 v0, v78, 11
	v_mul_lo_u16 v1, v80, 11
	v_and_b32_e32 v78, 0xffff, v78
	v_and_b32_e32 v80, 0xffff, v80
	s_delay_alu instid0(VALU_DEP_4) | instskip(NEXT) | instid1(VALU_DEP_4)
	v_sub_nc_u16 v0, v50, v0
	v_sub_nc_u16 v1, v46, v1
	s_delay_alu instid0(VALU_DEP_4) | instskip(NEXT) | instid1(VALU_DEP_3)
	v_mul_u32_u24_e32 v78, 0x108, v78
	v_and_b32_e32 v77, 0xff, v0
	s_delay_alu instid0(VALU_DEP_3) | instskip(NEXT) | instid1(VALU_DEP_2)
	v_and_b32_e32 v79, 0xff, v1
	v_lshlrev_b32_e32 v0, 4, v77
	s_delay_alu instid0(VALU_DEP_2)
	v_lshlrev_b32_e32 v4, 4, v79
	s_clause 0x1
	global_load_b128 v[0:3], v0, s[8:9]
	global_load_b128 v[4:7], v4, s[8:9]
	ds_load_2addr_b64 v[32:35], v56 offset0:123 offset1:222
	ds_load_2addr_b64 v[28:31], v54 offset0:77 offset1:176
	v_lshlrev_b32_e32 v77, 3, v77
	ds_load_2addr_b64 v[8:11], v55 offset0:7 offset1:106
	ds_load_2addr_b64 v[81:84], v57 offset0:65 offset1:164
	ds_load_b64 v[97:98], v52
	ds_load_b64 v[99:100], v52 offset:13464
	ds_load_2addr_b64 v[85:88], v38 offset0:53 offset1:152
	v_add3_u32 v77, 0, v78, v77
	s_wait_loadcnt_dscnt 0x506
	v_mul_f32_e32 v78, v33, v21
	v_mul_f32_e32 v21, v32, v21
	s_delay_alu instid0(VALU_DEP_2) | instskip(SKIP_1) | instid1(VALU_DEP_3)
	v_fmac_f32_e32 v78, v32, v20
	v_lshlrev_b32_e32 v76, 3, v76
	v_fma_f32 v20, v33, v20, -v21
	v_mul_u32_u24_e32 v65, 0xf83f, v61
	s_delay_alu instid0(VALU_DEP_3)
	v_add3_u32 v75, 0, v75, v76
	v_mul_u32_u24_e32 v76, 0x108, v80
	s_wait_loadcnt 0x4
	v_mul_f32_e32 v80, v35, v13
	v_lshrrev_b32_e32 v65, 21, v65
	v_mul_f32_e32 v13, v34, v13
	v_mul_u32_u24_e32 v66, 0xf83f, v59
	v_mul_u32_u24_e32 v68, 0xf83f, v62
	v_dual_fmac_f32 v80, v34, v12 :: v_dual_lshlrev_b32 v79, 3, v79
	s_delay_alu instid0(VALU_DEP_4) | instskip(NEXT) | instid1(VALU_DEP_4)
	v_fma_f32 v12, v35, v12, -v13
	v_lshrrev_b32_e32 v66, 21, v66
	s_delay_alu instid0(VALU_DEP_4) | instskip(NEXT) | instid1(VALU_DEP_4)
	v_lshrrev_b32_e32 v68, 21, v68
	v_add3_u32 v76, 0, v76, v79
	s_wait_dscnt 0x5
	v_mul_f32_e32 v79, v29, v23
	v_mul_f32_e32 v23, v28, v23
	v_mul_u32_u24_e32 v67, 0xf83f, v60
	v_mul_lo_u16 v111, v68, 33
	s_delay_alu instid0(VALU_DEP_4) | instskip(NEXT) | instid1(VALU_DEP_4)
	v_fmac_f32_e32 v79, v28, v22
	v_fma_f32 v21, v29, v22, -v23
	s_delay_alu instid0(VALU_DEP_4) | instskip(NEXT) | instid1(VALU_DEP_3)
	v_lshrrev_b32_e32 v67, 21, v67
	v_sub_f32_e32 v29, v78, v79
	s_delay_alu instid0(VALU_DEP_2)
	v_mul_lo_u16 v110, v67, 33
	s_wait_loadcnt_dscnt 0x201
	v_dual_mul_f32 v22, v100, v27 :: v_dual_lshlrev_b32 v73, 3, v73
	v_mul_f32_e32 v23, v99, v27
	v_mul_lo_u16 v64, 0xf9, v64
	v_mul_f32_e32 v27, v82, v25
	v_mul_f32_e32 v13, v81, v25
	v_add3_u32 v73, 0, v109, v73
	v_mul_f32_e32 v109, v11, v19
	v_mul_f32_e32 v19, v10, v19
	v_lshrrev_b16 v64, 13, v64
	v_fma_f32 v23, v100, v26, -v23
	v_fmac_f32_e32 v22, v99, v26
	v_fmac_f32_e32 v109, v10, v18
	v_lshlrev_b32_e32 v74, 3, v74
	v_fma_f32 v11, v11, v18, -v19
	v_add_f32_e32 v19, v78, v79
	v_mul_lo_u16 v106, v64, 33
	v_fma_f32 v10, v82, v24, -v13
	v_add3_u32 v74, 0, v107, v74
	v_dual_mul_f32 v107, v31, v15 :: v_dual_lshlrev_b32 v72, 3, v72
	v_mul_f32_e32 v15, v30, v15
	v_sub_nc_u16 v70, v46, v106
	v_mul_lo_u16 v106, v66, 33
	s_delay_alu instid0(VALU_DEP_4)
	v_fmac_f32_e32 v107, v30, v14
	v_add3_u32 v72, 0, v108, v72
	s_wait_dscnt 0x0
	v_mul_f32_e32 v108, v88, v17
	v_mul_f32_e32 v17, v87, v17
	v_fma_f32 v15, v31, v14, -v15
	v_add_f32_e32 v31, v80, v107
	v_sub_nc_u16 v106, v43, v106
	v_fmac_f32_e32 v108, v87, v16
	v_mul_lo_u16 v63, 0xf9, v63
	v_fma_f32 v14, v88, v16, -v17
	v_add_nc_u32_e32 v40, 0x400, v36
	s_delay_alu instid0(VALU_DEP_4) | instskip(NEXT) | instid1(VALU_DEP_4)
	v_dual_add_f32 v16, v108, v109 :: v_dual_add_nc_u32 v39, 0x800, v36
	v_lshrrev_b16 v63, 13, v63
	s_delay_alu instid0(VALU_DEP_4)
	v_add_f32_e32 v18, v14, v11
	ds_load_b64 v[101:102], v37
	ds_load_b64 v[103:104], v36 offset:4752
	ds_load_2addr_b64 v[89:92], v40 offset0:70 offset1:169
	ds_load_2addr_b64 v[93:96], v39 offset0:140 offset1:239
	v_sub_f32_e32 v32, v12, v15
	v_sub_f32_e32 v25, v108, v109
	v_mul_lo_u16 v105, v63, 33
	v_sub_f32_e32 v26, v20, v21
	global_wb scope:SCOPE_SE
	s_wait_loadcnt_dscnt 0x0
	s_barrier_signal -1
	s_barrier_wait -1
	v_sub_nc_u16 v71, v50, v105
	v_mul_lo_u16 v105, v65, 33
	v_dual_fmac_f32 v27, v81, v24 :: v_dual_sub_f32 v24, v14, v11
	v_add_f32_e32 v34, v12, v15
	s_delay_alu instid0(VALU_DEP_4) | instskip(NEXT) | instid1(VALU_DEP_4)
	v_and_b32_e32 v69, 0xff, v71
	v_sub_nc_u16 v105, v41, v105
	v_and_b32_e32 v71, 0xff, v70
	v_add_f32_e32 v87, v10, v23
	v_sub_f32_e32 v35, v80, v107
	s_delay_alu instid0(VALU_DEP_4)
	v_dual_sub_f32 v81, v10, v23 :: v_dual_and_b32 v70, 0xffff, v105
	v_add_f32_e32 v17, v90, v14
	v_add_f32_e32 v14, v91, v78
	;; [unrolled: 1-line block ×3, first 2 shown]
	v_dual_add_f32 v33, v94, v12 :: v_dual_lshlrev_b32 v112, 4, v69
	v_add_f32_e32 v13, v89, v108
	v_dual_add_f32 v28, v92, v20 :: v_dual_lshlrev_b32 v105, 4, v70
	v_add_f32_e32 v20, v20, v21
	v_add_f32_e32 v78, v95, v27
	v_add_f32_e32 v12, v14, v79
	v_add_f32_e32 v14, v30, v107
	s_delay_alu instid0(VALU_DEP_4)
	v_dual_add_f32 v15, v33, v15 :: v_dual_fmac_f32 v92, -0.5, v20
	v_fma_f32 v16, -0.5, v16, v89
	v_fma_f32 v91, -0.5, v19, v91
	v_fma_f32 v19, -0.5, v34, v94
	v_mul_f32_e32 v30, v1, v86
	v_mul_f32_e32 v1, v1, v85
	;; [unrolled: 1-line block ×3, first 2 shown]
	v_dual_mul_f32 v7, v7, v83 :: v_dual_mul_f32 v34, v5, v104
	v_dual_mul_f32 v5, v5, v103 :: v_dual_add_f32 v82, v96, v10
	v_add_f32_e32 v80, v27, v22
	v_dual_sub_f32 v88, v27, v22 :: v_dual_add_f32 v11, v17, v11
	v_add_f32_e32 v10, v13, v109
	v_add_f32_e32 v13, v28, v21
	;; [unrolled: 1-line block ×3, first 2 shown]
	v_fma_f32 v17, -0.5, v18, v90
	v_fma_f32 v18, -0.5, v31, v93
	v_dual_add_f32 v20, v78, v22 :: v_dual_mul_f32 v31, v9, v3
	v_mul_f32_e32 v3, v8, v3
	v_fmamk_f32 v22, v24, 0xbf5db3d7, v16
	v_dual_fmac_f32 v30, v0, v85 :: v_dual_fmac_f32 v33, v6, v83
	v_fma_f32 v0, v0, v86, -v1
	v_fma_f32 v1, v4, v104, -v5
	v_dual_fmac_f32 v96, -0.5, v87 :: v_dual_fmamk_f32 v23, v25, 0x3f5db3d7, v17
	v_fmac_f32_e32 v34, v4, v103
	v_fma_f32 v4, v6, v84, -v7
	v_fma_f32 v95, -0.5, v80, v95
	v_fmac_f32_e32 v17, 0xbf5db3d7, v25
	v_dual_fmamk_f32 v25, v29, 0x3f5db3d7, v92 :: v_dual_add_f32 v6, v98, v1
	v_fma_f32 v3, v9, v2, -v3
	v_fmac_f32_e32 v92, 0xbf5db3d7, v29
	v_fmamk_f32 v29, v88, 0x3f5db3d7, v96
	v_dual_fmac_f32 v31, v8, v2 :: v_dual_add_f32 v78, v102, v0
	v_add_f32_e32 v8, v1, v4
	v_fmac_f32_e32 v16, 0x3f5db3d7, v24
	v_dual_fmamk_f32 v24, v26, 0xbf5db3d7, v91 :: v_dual_sub_f32 v7, v1, v4
	v_fmac_f32_e32 v91, 0x3f5db3d7, v26
	v_fmamk_f32 v26, v32, 0xbf5db3d7, v18
	v_dual_fmac_f32 v18, 0x3f5db3d7, v32 :: v_dual_fmamk_f32 v27, v35, 0x3f5db3d7, v19
	v_dual_add_f32 v32, v101, v30 :: v_dual_add_f32 v79, v0, v3
	v_fmac_f32_e32 v98, -0.5, v8
	v_dual_add_f32 v1, v6, v4 :: v_dual_fmamk_f32 v28, v81, 0xbf5db3d7, v95
	v_add_f32_e32 v5, v34, v33
	v_dual_fmac_f32 v95, 0x3f5db3d7, v81 :: v_dual_add_f32 v2, v97, v34
	v_sub_f32_e32 v9, v34, v33
	v_add_f32_e32 v34, v30, v31
	v_fmac_f32_e32 v19, 0xbf5db3d7, v35
	s_delay_alu instid0(VALU_DEP_4)
	v_dual_sub_f32 v35, v0, v3 :: v_dual_add_f32 v0, v2, v33
	v_sub_f32_e32 v30, v30, v31
	v_fma_f32 v97, -0.5, v5, v97
	v_fmac_f32_e32 v102, -0.5, v79
	v_add_f32_e32 v2, v32, v31
	v_mul_u32_u24_e32 v31, 0xa57f, v62
	v_fmamk_f32 v5, v9, 0x3f5db3d7, v98
	v_fma_f32 v101, -0.5, v34, v101
	v_dual_add_f32 v3, v78, v3 :: v_dual_fmamk_f32 v4, v7, 0xbf5db3d7, v97
	s_delay_alu instid0(VALU_DEP_4)
	v_lshrrev_b32_e32 v31, 22, v31
	v_fmac_f32_e32 v97, 0x3f5db3d7, v7
	v_fmac_f32_e32 v98, 0xbf5db3d7, v9
	v_fmamk_f32 v6, v35, 0xbf5db3d7, v101
	v_fmamk_f32 v7, v30, 0x3f5db3d7, v102
	v_fmac_f32_e32 v101, 0x3f5db3d7, v35
	v_fmac_f32_e32 v102, 0xbf5db3d7, v30
	global_inv scope:SCOPE_SE
	v_fmac_f32_e32 v96, 0xbf5db3d7, v88
	v_mul_lo_u16 v86, 0x63, v31
	v_lshlrev_b32_e32 v31, 3, v71
	ds_store_2addr_b64 v76, v[0:1], v[4:5] offset1:11
	ds_store_b64 v76, v[97:98] offset:176
	ds_store_2addr_b64 v77, v[2:3], v[6:7] offset1:11
	ds_store_b64 v77, v[101:102] offset:176
	;; [unrolled: 2-line block ×6, first 2 shown]
	global_wb scope:SCOPE_SE
	s_wait_dscnt 0x0
	s_barrier_signal -1
	s_barrier_wait -1
	global_inv scope:SCOPE_SE
	s_clause 0x1
	global_load_b128 v[8:11], v112, s[8:9] offset:176
	global_load_b128 v[0:3], v105, s[8:9] offset:176
	v_sub_nc_u16 v4, v58, v110
	v_and_b32_e32 v26, 0xffff, v106
	v_sub_nc_u16 v6, v42, v111
	v_lshlrev_b32_e32 v5, 4, v71
	v_lshlrev_b32_e32 v24, 1, v46
	v_and_b32_e32 v27, 0xffff, v4
	v_lshlrev_b32_e32 v4, 4, v26
	v_and_b32_e32 v28, 0xffff, v6
	global_load_b128 v[12:15], v5, s[8:9] offset:176
	v_mov_b32_e32 v25, 0
	v_mul_u32_u24_e32 v30, 0xa57f, v60
	global_load_b128 v[16:19], v4, s[8:9] offset:176
	v_lshlrev_b32_e32 v5, 4, v27
	v_lshlrev_b32_e32 v4, 4, v28
	s_clause 0x1
	global_load_b128 v[20:23], v5, s[8:9] offset:176
	global_load_b128 v[4:7], v4, s[8:9] offset:176
	v_lshlrev_b64_e32 v[34:35], 3, v[24:25]
	v_mul_u32_u24_e32 v24, 0xa57f, v59
	v_lshrrev_b32_e32 v30, 22, v30
	v_and_b32_e32 v32, 0xffff, v64
	v_and_b32_e32 v33, 0xffff, v63
	v_mul_u32_u24_e32 v29, 0xa57f, v61
	v_lshrrev_b32_e32 v24, 22, v24
	v_mul_lo_u16 v30, 0x63, v30
	v_mul_u32_u24_e32 v32, 0x318, v32
	v_mul_u32_u24_e32 v33, 0x318, v33
	v_lshrrev_b32_e32 v29, 22, v29
	v_mul_lo_u16 v24, 0x63, v24
	v_sub_nc_u16 v30, v58, v30
	v_mul_u32_u24_e32 v59, 0x318, v65
	v_mul_u32_u24_e32 v60, 0x318, v66
	v_mul_lo_u16 v29, 0x63, v29
	v_sub_nc_u16 v24, v43, v24
	v_lshlrev_b32_e32 v43, 3, v69
	v_and_b32_e32 v88, 0xffff, v30
	v_mul_u32_u24_e32 v61, 0x318, v67
	v_sub_nc_u16 v29, v41, v29
	v_and_b32_e32 v87, 0xffff, v24
	v_add3_u32 v24, 0, v32, v31
	v_add3_u32 v43, 0, v33, v43
	ds_load_2addr_b64 v[30:33], v55 offset0:7 offset1:106
	v_and_b32_e32 v89, 0xffff, v29
	v_lshlrev_b32_e32 v64, 3, v27
	v_mul_u32_u24_e32 v62, 0x318, v68
	v_lshlrev_b32_e32 v58, 3, v70
	s_delay_alu instid0(VALU_DEP_1)
	v_add3_u32 v92, 0, v59, v58
	s_wait_loadcnt_dscnt 0x500
	v_mul_f32_e32 v97, v11, v31
	v_lshlrev_b32_e32 v63, 3, v26
	s_wait_loadcnt 0x4
	v_mul_f32_e32 v99, v33, v3
	v_lshlrev_b32_e32 v65, 3, v28
	ds_load_2addr_b64 v[26:29], v38 offset0:53 offset1:152
	v_mul_f32_e32 v11, v11, v30
	v_add3_u32 v93, 0, v60, v63
	v_add3_u32 v94, 0, v61, v64
	v_add3_u32 v95, 0, v62, v65
	ds_load_2addr_b64 v[58:61], v57 offset0:65 offset1:164
	ds_load_b64 v[78:79], v36 offset:4752
	ds_load_b64 v[80:81], v52
	ds_load_b64 v[82:83], v37
	ds_load_2addr_b64 v[62:65], v56 offset0:123 offset1:222
	ds_load_2addr_b64 v[66:69], v54 offset0:77 offset1:176
	;; [unrolled: 1-line block ×4, first 2 shown]
	ds_load_b64 v[84:85], v52 offset:13464
	v_mul_f32_e32 v3, v32, v3
	v_lshlrev_b32_e32 v91, 4, v88
	global_wb scope:SCOPE_SE
	s_wait_loadcnt_dscnt 0x0
	s_barrier_signal -1
	s_barrier_wait -1
	global_inv scope:SCOPE_SE
	v_mul_f32_e32 v106, v59, v5
	v_mul_f32_e32 v100, v13, v79
	;; [unrolled: 1-line block ×4, first 2 shown]
	v_dual_mul_f32 v9, v9, v26 :: v_dual_lshlrev_b32 v90, 4, v87
	v_mul_f32_e32 v98, v29, v1
	v_mul_f32_e32 v1, v28, v1
	;; [unrolled: 1-line block ×3, first 2 shown]
	v_dual_mul_f32 v15, v15, v60 :: v_dual_fmac_f32 v96, v8, v26
	v_mul_f32_e32 v102, v63, v17
	v_mul_f32_e32 v104, v65, v21
	;; [unrolled: 1-line block ×3, first 2 shown]
	v_fma_f32 v8, v8, v27, -v9
	v_fma_f32 v9, v10, v31, -v11
	v_fmac_f32_e32 v102, v62, v16
	v_dual_mul_f32 v17, v62, v17 :: v_dual_mul_f32 v26, v85, v7
	v_dual_mul_f32 v103, v67, v19 :: v_dual_fmac_f32 v98, v28, v0
	v_dual_mul_f32 v19, v66, v19 :: v_dual_fmac_f32 v100, v12, v78
	;; [unrolled: 1-line block ×5, first 2 shown]
	v_fma_f32 v0, v29, v0, -v1
	v_fmac_f32_e32 v99, v32, v2
	v_fma_f32 v1, v12, v79, -v13
	v_fmac_f32_e32 v101, v14, v60
	v_fma_f32 v12, v65, v20, -v21
	v_dual_sub_f32 v20, v8, v9 :: v_dual_fmac_f32 v97, v10, v30
	v_fma_f32 v10, v33, v2, -v3
	v_fma_f32 v2, v14, v61, -v15
	v_mul_f32_e32 v7, v84, v7
	v_fma_f32 v3, v63, v16, -v17
	v_fmac_f32_e32 v103, v66, v18
	v_fma_f32 v11, v67, v18, -v19
	v_sub_f32_e32 v18, v100, v101
	v_fmac_f32_e32 v105, v68, v22
	v_fma_f32 v13, v69, v22, -v23
	v_fma_f32 v4, v59, v4, -v5
	v_sub_f32_e32 v58, v3, v11
	v_add_f32_e32 v14, v1, v2
	v_fma_f32 v15, v85, v6, -v7
	v_add_f32_e32 v6, v100, v101
	v_dual_add_f32 v19, v96, v97 :: v_dual_add_f32 v62, v74, v104
	v_dual_sub_f32 v17, v1, v2 :: v_dual_add_f32 v16, v82, v96
	v_dual_add_f32 v21, v83, v8 :: v_dual_sub_f32 v22, v96, v97
	v_dual_add_f32 v8, v8, v9 :: v_dual_add_f32 v27, v98, v99
	v_dual_add_f32 v30, v0, v10 :: v_dual_add_f32 v7, v81, v1
	v_sub_f32_e32 v28, v0, v10
	v_dual_add_f32 v5, v80, v100 :: v_dual_add_f32 v60, v3, v11
	v_dual_add_f32 v23, v70, v98 :: v_dual_sub_f32 v64, v12, v13
	v_dual_sub_f32 v31, v98, v99 :: v_dual_add_f32 v66, v12, v13
	v_dual_add_f32 v33, v102, v103 :: v_dual_add_f32 v68, v76, v106
	v_add_f32_e32 v59, v73, v3
	v_add_f32_e32 v63, v104, v105
	v_dual_add_f32 v65, v75, v12 :: v_dual_sub_f32 v78, v4, v15
	v_dual_add_f32 v69, v106, v26 :: v_dual_add_f32 v84, v4, v15
	v_fma_f32 v80, -0.5, v6, v80
	v_fma_f32 v82, -0.5, v19, v82
	v_fmac_f32_e32 v81, -0.5, v14
	v_dual_add_f32 v29, v71, v0 :: v_dual_add_f32 v32, v72, v102
	v_fma_f32 v6, -0.5, v27, v70
	v_fmac_f32_e32 v83, -0.5, v8
	v_add_f32_e32 v1, v7, v2
	v_fma_f32 v7, -0.5, v30, v71
	v_dual_sub_f32 v61, v102, v103 :: v_dual_add_f32 v0, v5, v101
	v_sub_f32_e32 v67, v104, v105
	v_dual_add_f32 v79, v77, v4 :: v_dual_add_f32 v8, v32, v103
	v_dual_sub_f32 v85, v106, v26 :: v_dual_add_f32 v2, v16, v97
	v_dual_add_f32 v3, v21, v9 :: v_dual_add_f32 v14, v68, v26
	v_add_f32_e32 v4, v23, v99
	v_fma_f32 v72, -0.5, v33, v72
	v_add_f32_e32 v9, v59, v11
	v_fmac_f32_e32 v73, -0.5, v60
	v_fma_f32 v12, -0.5, v63, v74
	v_add_f32_e32 v11, v65, v13
	v_fma_f32 v13, -0.5, v66, v75
	v_fma_f32 v76, -0.5, v69, v76
	v_dual_fmac_f32 v77, -0.5, v84 :: v_dual_fmamk_f32 v16, v17, 0xbf5db3d7, v80
	v_dual_fmac_f32 v80, 0x3f5db3d7, v17 :: v_dual_fmamk_f32 v17, v18, 0x3f5db3d7, v81
	v_fmac_f32_e32 v81, 0xbf5db3d7, v18
	v_dual_add_f32 v5, v29, v10 :: v_dual_fmamk_f32 v18, v20, 0xbf5db3d7, v82
	v_fmac_f32_e32 v82, 0x3f5db3d7, v20
	v_fmamk_f32 v20, v28, 0xbf5db3d7, v6
	v_fmamk_f32 v19, v22, 0x3f5db3d7, v83
	v_fmac_f32_e32 v83, 0xbf5db3d7, v22
	v_dual_fmamk_f32 v21, v31, 0x3f5db3d7, v7 :: v_dual_add_f32 v10, v62, v105
	v_dual_add_f32 v15, v79, v15 :: v_dual_fmamk_f32 v26, v64, 0xbf5db3d7, v12
	v_fmac_f32_e32 v6, 0x3f5db3d7, v28
	v_dual_fmac_f32 v7, 0xbf5db3d7, v31 :: v_dual_fmamk_f32 v22, v58, 0xbf5db3d7, v72
	v_dual_fmac_f32 v72, 0x3f5db3d7, v58 :: v_dual_fmamk_f32 v23, v61, 0x3f5db3d7, v73
	v_fmac_f32_e32 v73, 0xbf5db3d7, v61
	v_dual_fmac_f32 v12, 0x3f5db3d7, v64 :: v_dual_fmamk_f32 v27, v67, 0x3f5db3d7, v13
	v_dual_fmac_f32 v13, 0xbf5db3d7, v67 :: v_dual_fmamk_f32 v28, v78, 0xbf5db3d7, v76
	;; [unrolled: 1-line block ×3, first 2 shown]
	v_fmac_f32_e32 v77, 0xbf5db3d7, v85
	ds_store_2addr_b64 v24, v[0:1], v[16:17] offset1:33
	ds_store_b64 v24, v[80:81] offset:528
	ds_store_2addr_b64 v43, v[2:3], v[18:19] offset1:33
	ds_store_b64 v43, v[82:83] offset:528
	;; [unrolled: 2-line block ×6, first 2 shown]
	global_wb scope:SCOPE_SE
	s_wait_dscnt 0x0
	s_barrier_signal -1
	s_barrier_wait -1
	global_inv scope:SCOPE_SE
	s_clause 0x1
	global_load_b128 v[2:5], v90, s[8:9] offset:704
	global_load_b128 v[6:9], v91, s[8:9] offset:704
	ds_load_2addr_b64 v[26:29], v56 offset0:123 offset1:222
	v_add_co_u32 v0, s0, s8, v34
	s_wait_alu 0xf1ff
	v_add_co_ci_u32_e64 v1, s0, s9, v35, s0
	v_sub_nc_u16 v14, v42, v86
	v_lshlrev_b32_e32 v24, 1, v50
	v_lshl_add_u32 v43, v87, 3, 0
	global_load_b128 v[10:13], v[0:1], off offset:704
	v_lshl_add_u32 v84, v88, 3, 0
	v_and_b32_e32 v30, 0xffff, v14
	v_lshlrev_b64_e32 v[22:23], 3, v[24:25]
	v_lshlrev_b32_e32 v24, 1, v41
	s_delay_alu instid0(VALU_DEP_1) | instskip(SKIP_1) | instid1(VALU_DEP_4)
	v_lshlrev_b64_e32 v[34:35], 3, v[24:25]
	v_lshl_add_u32 v24, v89, 3, 0
	v_add_co_u32 v22, s0, s8, v22
	s_wait_alu 0xf1ff
	v_add_co_ci_u32_e64 v23, s0, s9, v23, s0
	s_wait_loadcnt_dscnt 0x200
	v_mul_f32_e32 v90, v27, v3
	v_mul_f32_e32 v3, v26, v3
	v_lshlrev_b32_e32 v15, 4, v89
	v_lshlrev_b32_e32 v18, 4, v30
	v_lshl_add_u32 v85, v30, 3, 0
	v_fmac_f32_e32 v90, v26, v2
	ds_load_2addr_b64 v[30:33], v54 offset0:77 offset1:176
	s_clause 0x1
	global_load_b128 v[14:17], v15, s[8:9] offset:704
	global_load_b128 v[18:21], v18, s[8:9] offset:704
	ds_load_2addr_b64 v[58:61], v57 offset0:65 offset1:164
	ds_load_2addr_b64 v[62:65], v38 offset0:53 offset1:152
	;; [unrolled: 1-line block ×3, first 2 shown]
	ds_load_b64 v[41:42], v52
	ds_load_b64 v[78:79], v37
	ds_load_2addr_b64 v[70:73], v40 offset0:70 offset1:169
	ds_load_2addr_b64 v[74:77], v39 offset0:140 offset1:239
	ds_load_b64 v[80:81], v36 offset:4752
	ds_load_b64 v[82:83], v52 offset:13464
	s_wait_loadcnt 0x3
	v_mul_f32_e32 v92, v29, v7
	v_add_nc_u32_e32 v86, 0x1000, v24
	v_add_nc_u32_e32 v87, 0x1800, v43
	v_fma_f32 v2, v27, v2, -v3
	v_add_nc_u32_e32 v88, 0x2400, v84
	v_fmac_f32_e32 v92, v28, v6
	global_wb scope:SCOPE_SE
	s_wait_loadcnt_dscnt 0x0
	s_barrier_signal -1
	s_barrier_wait -1
	global_inv scope:SCOPE_SE
	v_dual_mul_f32 v94, v11, v63 :: v_dual_add_nc_u32 v89, 0x2c00, v85
	v_dual_mul_f32 v100, v13, v66 :: v_dual_mul_f32 v91, v31, v5
	s_delay_alu instid0(VALU_DEP_2) | instskip(SKIP_3) | instid1(VALU_DEP_3)
	v_fmac_f32_e32 v94, v10, v62
	v_dual_mul_f32 v98, v11, v81 :: v_dual_mul_f32 v7, v28, v7
	v_mul_f32_e32 v101, v13, v61
	v_mul_f32_e32 v5, v30, v5
	v_fmac_f32_e32 v98, v10, v80
	s_delay_alu instid0(VALU_DEP_4)
	v_fma_f32 v3, v29, v6, -v7
	v_fma_f32 v6, v12, v67, -v100
	v_fmac_f32_e32 v101, v12, v60
	v_mul_f32_e32 v95, v11, v62
	v_mul_f32_e32 v11, v11, v80
	v_fma_f32 v26, v31, v4, -v5
	v_add_f32_e32 v62, v73, v2
	v_mul_f32_e32 v96, v65, v15
	v_dual_mul_f32 v93, v33, v9 :: v_dual_mul_f32 v102, v59, v19
	v_mul_f32_e32 v9, v32, v9
	v_mul_f32_e32 v15, v64, v15
	s_delay_alu instid0(VALU_DEP_4)
	v_dual_fmac_f32 v96, v64, v14 :: v_dual_fmac_f32 v91, v30, v4
	v_mul_f32_e32 v103, v83, v21
	v_dual_fmac_f32 v93, v32, v8 :: v_dual_fmac_f32 v102, v58, v18
	v_fma_f32 v27, v33, v8, -v9
	v_fma_f32 v8, v10, v81, -v11
	v_mul_f32_e32 v99, v13, v67
	v_mul_f32_e32 v13, v13, v60
	;; [unrolled: 1-line block ×4, first 2 shown]
	v_add_f32_e32 v60, v90, v91
	v_fmac_f32_e32 v103, v82, v20
	v_fmac_f32_e32 v99, v12, v66
	v_fma_f32 v9, v12, v61, -v13
	v_add_f32_e32 v12, v98, v101
	v_fma_f32 v4, v10, v63, -v95
	v_mul_f32_e32 v17, v68, v17
	s_delay_alu instid0(VALU_DEP_1)
	v_fma_f32 v7, v69, v16, -v17
	v_fma_f32 v17, v83, v20, -v21
	v_sub_f32_e32 v20, v98, v101
	v_fma_f32 v5, v65, v14, -v15
	v_mul_f32_e32 v19, v58, v19
	v_dual_add_f32 v14, v78, v94 :: v_dual_fmac_f32 v97, v68, v16
	v_add_f32_e32 v68, v75, v3
	s_delay_alu instid0(VALU_DEP_4) | instskip(NEXT) | instid1(VALU_DEP_4)
	v_add_f32_e32 v32, v71, v5
	v_fma_f32 v10, v59, v18, -v19
	v_add_f32_e32 v18, v4, v6
	v_add_f32_e32 v30, v96, v97
	v_sub_f32_e32 v58, v96, v97
	v_dual_sub_f32 v64, v90, v91 :: v_dual_add_f32 v11, v41, v98
	v_sub_f32_e32 v80, v92, v93
	v_add_f32_e32 v66, v92, v93
	v_dual_sub_f32 v19, v8, v9 :: v_dual_add_f32 v82, v102, v103
	v_add_f32_e32 v59, v72, v90
	v_dual_add_f32 v90, v77, v10 :: v_dual_add_f32 v13, v42, v8
	v_add_f32_e32 v8, v8, v9
	v_fma_f32 v41, -0.5, v12, v41
	v_dual_add_f32 v15, v94, v99 :: v_dual_add_f32 v16, v79, v4
	v_sub_f32_e32 v28, v94, v99
	s_delay_alu instid0(VALU_DEP_4)
	v_fmac_f32_e32 v42, -0.5, v8
	v_sub_f32_e32 v94, v102, v103
	v_sub_f32_e32 v31, v5, v7
	v_fma_f32 v8, -0.5, v30, v70
	v_fma_f32 v72, -0.5, v60, v72
	v_fmac_f32_e32 v79, -0.5, v18
	v_dual_fmamk_f32 v18, v19, 0xbf5db3d7, v41 :: v_dual_add_f32 v81, v76, v102
	v_sub_f32_e32 v21, v4, v6
	v_add_f32_e32 v33, v5, v7
	v_fma_f32 v78, -0.5, v15, v78
	v_add_f32_e32 v65, v74, v92
	v_sub_f32_e32 v83, v10, v17
	v_add_f32_e32 v92, v10, v17
	v_add_f32_e32 v4, v14, v99
	v_dual_add_f32 v29, v70, v96 :: v_dual_add_f32 v10, v59, v91
	v_sub_f32_e32 v61, v2, v26
	v_dual_add_f32 v5, v16, v6 :: v_dual_add_f32 v16, v81, v103
	v_dual_add_f32 v63, v2, v26 :: v_dual_add_f32 v12, v65, v93
	v_add_f32_e32 v69, v3, v27
	v_sub_f32_e32 v67, v3, v27
	v_add_f32_e32 v2, v11, v101
	v_fma_f32 v14, -0.5, v66, v74
	v_fmac_f32_e32 v41, 0x3f5db3d7, v19
	v_fmamk_f32 v19, v20, 0x3f5db3d7, v42
	v_fmac_f32_e32 v42, 0xbf5db3d7, v20
	v_fmamk_f32 v20, v21, 0xbf5db3d7, v78
	v_dual_add_f32 v3, v13, v9 :: v_dual_fmamk_f32 v30, v67, 0xbf5db3d7, v14
	v_fma_f32 v9, -0.5, v33, v71
	v_fmac_f32_e32 v73, -0.5, v63
	v_fma_f32 v76, -0.5, v82, v76
	v_dual_fmac_f32 v77, -0.5, v92 :: v_dual_fmac_f32 v78, 0x3f5db3d7, v21
	v_fma_f32 v15, -0.5, v69, v75
	v_fmamk_f32 v21, v28, 0x3f5db3d7, v79
	v_dual_fmac_f32 v79, 0xbf5db3d7, v28 :: v_dual_add_f32 v6, v29, v97
	v_dual_add_f32 v11, v62, v26 :: v_dual_fmac_f32 v14, 0x3f5db3d7, v67
	v_dual_add_f32 v13, v68, v27 :: v_dual_fmamk_f32 v26, v31, 0xbf5db3d7, v8
	v_fmac_f32_e32 v8, 0x3f5db3d7, v31
	v_dual_add_f32 v7, v32, v7 :: v_dual_fmamk_f32 v32, v83, 0xbf5db3d7, v76
	v_fmamk_f32 v27, v58, 0x3f5db3d7, v9
	v_dual_fmac_f32 v9, 0xbf5db3d7, v58 :: v_dual_fmamk_f32 v28, v61, 0xbf5db3d7, v72
	v_fmamk_f32 v29, v64, 0x3f5db3d7, v73
	v_dual_add_f32 v17, v90, v17 :: v_dual_fmac_f32 v76, 0x3f5db3d7, v83
	v_fmac_f32_e32 v72, 0x3f5db3d7, v61
	v_fmac_f32_e32 v73, 0xbf5db3d7, v64
	v_fmamk_f32 v31, v80, 0x3f5db3d7, v15
	v_fmac_f32_e32 v15, 0xbf5db3d7, v80
	v_fmamk_f32 v33, v94, 0x3f5db3d7, v77
	v_fmac_f32_e32 v77, 0xbf5db3d7, v94
	ds_store_2addr_b64 v52, v[2:3], v[18:19] offset1:99
	ds_store_2addr_b64 v47, v[41:42], v[4:5] offset0:70 offset1:169
	ds_store_2addr_b64 v51, v[20:21], v[78:79] offset0:140 offset1:239
	;; [unrolled: 1-line block ×6, first 2 shown]
	ds_store_b64 v24, v[8:9] offset:6336
	ds_store_b64 v43, v[72:73] offset:8712
	;; [unrolled: 1-line block ×4, first 2 shown]
	global_wb scope:SCOPE_SE
	s_wait_dscnt 0x0
	s_barrier_signal -1
	s_barrier_wait -1
	global_inv scope:SCOPE_SE
	global_load_b128 v[6:9], v[0:1], off offset:2288
	v_add_co_u32 v0, s0, s8, v34
	s_wait_alu 0xf1ff
	v_add_co_ci_u32_e64 v1, s0, s9, v35, s0
	s_clause 0x1
	global_load_b128 v[10:13], v[22:23], off offset:2288
	global_load_b128 v[14:17], v[0:1], off offset:2288
	ds_load_b64 v[34:35], v36 offset:4752
	v_mov_b32_e32 v47, v25
	s_wait_loadcnt_dscnt 0x200
	v_mul_f32_e32 v43, v7, v35
	s_delay_alu instid0(VALU_DEP_1)
	v_fmac_f32_e32 v43, v6, v34
	v_mov_b32_e32 v51, v25
	ds_load_2addr_b64 v[18:21], v57 offset0:65 offset1:164
	ds_load_2addr_b64 v[22:25], v38 offset0:53 offset1:152
	;; [unrolled: 1-line block ×3, first 2 shown]
	v_lshlrev_b64_e32 v[2:3], 3, v[50:51]
	ds_load_b64 v[41:42], v52
	ds_load_b64 v[50:51], v37
	ds_load_2addr_b64 v[30:33], v40 offset0:70 offset1:169
	ds_load_2addr_b64 v[58:61], v56 offset0:123 offset1:222
	;; [unrolled: 1-line block ×4, first 2 shown]
	ds_load_b64 v[70:71], v52 offset:13464
	global_wb scope:SCOPE_SE
	s_wait_loadcnt_dscnt 0x0
	s_barrier_signal -1
	s_barrier_wait -1
	global_inv scope:SCOPE_SE
	v_mul_f32_e32 v72, v9, v21
	v_mul_f32_e32 v74, v11, v23
	v_dual_mul_f32 v75, v11, v22 :: v_dual_mul_f32 v76, v13, v27
	v_mul_f32_e32 v84, v61, v11
	v_mul_f32_e32 v78, v25, v15
	;; [unrolled: 1-line block ×4, first 2 shown]
	v_dual_mul_f32 v83, v63, v9 :: v_dual_fmac_f32 v74, v10, v22
	v_fma_f32 v22, v10, v23, -v75
	v_mul_f32_e32 v73, v9, v20
	v_dual_mul_f32 v9, v62, v9 :: v_dual_fmac_f32 v84, v60, v10
	v_mul_f32_e32 v86, v19, v15
	v_fmac_f32_e32 v78, v24, v14
	v_dual_fmac_f32 v72, v8, v20 :: v_dual_mul_f32 v77, v13, v26
	v_fmac_f32_e32 v76, v12, v26
	v_fmac_f32_e32 v80, v28, v16
	v_dual_mul_f32 v79, v24, v15 :: v_dual_fmac_f32 v82, v58, v6
	v_fma_f32 v26, v63, v8, -v9
	v_add_f32_e32 v63, v66, v84
	v_fmac_f32_e32 v83, v62, v8
	v_mul_f32_e32 v81, v28, v17
	v_mul_f32_e32 v85, v65, v13
	v_lshlrev_b64_e32 v[0:1], 3, v[46:47]
	v_mul_f32_e32 v47, v7, v34
	v_fma_f32 v20, v8, v21, -v73
	v_fma_f32 v21, v12, v27, -v77
	v_dual_fmac_f32 v86, v18, v14 :: v_dual_mul_f32 v87, v71, v17
	v_mul_f32_e32 v17, v70, v17
	v_dual_sub_f32 v62, v82, v83 :: v_dual_fmac_f32 v85, v64, v12
	v_mul_f32_e32 v15, v18, v15
	v_add_f32_e32 v18, v78, v80
	v_fma_f32 v23, v25, v14, -v79
	v_mul_f32_e32 v7, v58, v7
	v_add_f32_e32 v58, v82, v83
	v_fma_f32 v25, v29, v16, -v81
	v_fma_f32 v28, v71, v16, -v17
	v_add_f32_e32 v9, v41, v43
	v_mul_f32_e32 v13, v64, v13
	v_sub_f32_e32 v34, v22, v21
	v_fmac_f32_e32 v87, v70, v16
	v_add_f32_e32 v16, v22, v21
	v_add_f32_e32 v64, v84, v85
	v_fma_f32 v8, v19, v14, -v15
	v_dual_mul_f32 v11, v60, v11 :: v_dual_add_f32 v14, v74, v76
	v_fma_f32 v24, v6, v35, -v47
	v_add_f32_e32 v15, v51, v22
	v_add_f32_e32 v22, v23, v25
	v_fma_f32 v6, v59, v6, -v7
	v_add_f32_e32 v17, v30, v78
	v_sub_f32_e32 v77, v8, v28
	v_add_f32_e32 v79, v8, v28
	v_sub_f32_e32 v35, v74, v76
	v_sub_f32_e32 v59, v6, v26
	v_dual_sub_f32 v47, v78, v80 :: v_dual_add_f32 v60, v33, v6
	v_add_f32_e32 v78, v69, v8
	v_fma_f32 v7, v61, v10, -v11
	v_dual_add_f32 v61, v6, v26 :: v_dual_add_f32 v6, v9, v72
	v_fma_f32 v27, v65, v12, -v13
	v_dual_add_f32 v13, v50, v74 :: v_dual_add_f32 v12, v24, v20
	v_add_f32_e32 v74, v68, v86
	v_sub_f32_e32 v29, v24, v20
	s_delay_alu instid0(VALU_DEP_3) | instskip(SKIP_4) | instid1(VALU_DEP_4)
	v_dual_sub_f32 v65, v7, v27 :: v_dual_add_f32 v8, v13, v76
	v_add_f32_e32 v10, v43, v72
	v_fma_f32 v50, -0.5, v14, v50
	v_dual_fmac_f32 v51, -0.5, v16 :: v_dual_add_f32 v16, v63, v85
	v_add_f32_e32 v71, v7, v27
	v_fma_f32 v41, -0.5, v10, v41
	v_add_f32_e32 v11, v42, v24
	v_sub_f32_e32 v24, v43, v72
	v_dual_sub_f32 v43, v23, v25 :: v_dual_fmac_f32 v42, -0.5, v12
	v_fma_f32 v12, -0.5, v18, v30
	v_fma_f32 v18, -0.5, v64, v66
	v_add_f32_e32 v19, v31, v23
	v_add_f32_e32 v23, v32, v82
	v_add_co_u32 v4, s0, s8, v0
	s_delay_alu instid0(VALU_DEP_4) | instskip(SKIP_1) | instid1(VALU_DEP_4)
	v_fmamk_f32 v30, v65, 0xbf5db3d7, v18
	v_fmac_f32_e32 v18, 0x3f5db3d7, v65
	v_dual_add_f32 v14, v23, v83 :: v_dual_fmamk_f32 v23, v24, 0x3f5db3d7, v42
	v_fmac_f32_e32 v42, 0xbf5db3d7, v24
	v_fmamk_f32 v24, v34, 0xbf5db3d7, v50
	v_dual_fmac_f32 v50, 0x3f5db3d7, v34 :: v_dual_add_f32 v75, v86, v87
	s_wait_alu 0xf1ff
	v_add_co_ci_u32_e64 v5, s0, s9, v1, s0
	v_add_co_u32 v2, s0, s8, v2
	s_delay_alu instid0(VALU_DEP_3)
	v_fma_f32 v68, -0.5, v75, v68
	v_sub_f32_e32 v81, v86, v87
	v_fma_f32 v32, -0.5, v58, v32
	v_fmac_f32_e32 v69, -0.5, v79
	v_dual_add_f32 v70, v67, v7 :: v_dual_sub_f32 v73, v84, v85
	v_add_f32_e32 v7, v11, v20
	v_add_f32_e32 v11, v19, v25
	v_fma_f32 v13, -0.5, v22, v31
	v_fma_f32 v19, -0.5, v71, v67
	v_fmamk_f32 v34, v77, 0xbf5db3d7, v68
	v_fmac_f32_e32 v68, 0x3f5db3d7, v77
	v_fmac_f32_e32 v33, -0.5, v61
	s_wait_alu 0xf1ff
	v_add_co_ci_u32_e64 v3, s0, s9, v3, s0
	v_add_f32_e32 v20, v74, v87
	v_fmamk_f32 v22, v29, 0xbf5db3d7, v41
	v_fmac_f32_e32 v41, 0x3f5db3d7, v29
	v_add_f32_e32 v9, v15, v21
	v_add_f32_e32 v15, v60, v26
	v_dual_add_f32 v21, v78, v28 :: v_dual_fmamk_f32 v28, v59, 0xbf5db3d7, v32
	v_fmac_f32_e32 v32, 0x3f5db3d7, v59
	v_fmamk_f32 v26, v43, 0xbf5db3d7, v12
	v_fmamk_f32 v25, v35, 0x3f5db3d7, v51
	v_fmac_f32_e32 v51, 0xbf5db3d7, v35
	v_fmamk_f32 v35, v81, 0x3f5db3d7, v69
	v_fmac_f32_e32 v69, 0xbf5db3d7, v81
	v_fmac_f32_e32 v12, 0x3f5db3d7, v43
	v_dual_add_f32 v10, v17, v80 :: v_dual_add_f32 v17, v70, v27
	v_fmamk_f32 v27, v47, 0x3f5db3d7, v13
	v_fmac_f32_e32 v13, 0xbf5db3d7, v47
	v_fmamk_f32 v29, v62, 0x3f5db3d7, v33
	v_fmac_f32_e32 v33, 0xbf5db3d7, v62
	;; [unrolled: 2-line block ×3, first 2 shown]
	ds_store_b64 v52, v[6:7]
	ds_store_b64 v52, v[22:23] offset:2376
	ds_store_b64 v52, v[41:42] offset:4752
	ds_store_b64 v37, v[8:9]
	ds_store_b64 v37, v[24:25] offset:2376
	ds_store_b64 v37, v[50:51] offset:4752
	;; [unrolled: 1-line block ×14, first 2 shown]
	global_wb scope:SCOPE_SE
	s_wait_dscnt 0x0
	s_barrier_signal -1
	s_barrier_wait -1
	global_inv scope:SCOPE_SE
	s_clause 0x8
	global_load_b64 v[34:35], v[4:5], off offset:7040
	global_load_b64 v[41:42], v[2:3], off offset:7040
	;; [unrolled: 1-line block ×9, first 2 shown]
	ds_load_2addr_b64 v[6:9], v56 offset0:123 offset1:222
	ds_load_2addr_b64 v[10:13], v57 offset0:65 offset1:164
	ds_load_b64 v[56:57], v52
	ds_load_2addr_b64 v[14:17], v55 offset0:7 offset1:106
	ds_load_2addr_b64 v[18:21], v40 offset0:70 offset1:169
	;; [unrolled: 1-line block ×5, first 2 shown]
	ds_load_b64 v[54:55], v37
	ds_load_b64 v[70:71], v36 offset:4752
	ds_load_b64 v[72:73], v52 offset:13464
	v_add_nc_u32_e32 v43, 0x2000, v36
	v_add_nc_u32_e32 v47, 0x2800, v36
	global_wb scope:SCOPE_SE
	s_wait_loadcnt_dscnt 0x0
	s_barrier_signal -1
	s_barrier_wait -1
	global_inv scope:SCOPE_SE
	v_cmp_ne_u32_e64 s0, 0, v46
	v_mul_f32_e32 v74, v35, v7
	v_mul_f32_e32 v35, v35, v6
	;; [unrolled: 1-line block ×11, first 2 shown]
	v_dual_mul_f32 v63, v16, v63 :: v_dual_mul_f32 v80, v27, v65
	v_mul_f32_e32 v65, v26, v65
	v_mul_f32_e32 v81, v29, v67
	v_dual_mul_f32 v67, v28, v67 :: v_dual_mul_f32 v82, v73, v69
	v_dual_mul_f32 v69, v72, v69 :: v_dual_fmac_f32 v74, v34, v6
	v_fma_f32 v7, v34, v7, -v35
	v_fmac_f32_e32 v75, v41, v8
	v_fma_f32 v9, v41, v9, -v42
	v_fmac_f32_e32 v76, v50, v10
	;; [unrolled: 2-line block ×5, first 2 shown]
	v_sub_f32_e32 v12, v20, v77
	v_fma_f32 v17, v17, v62, -v63
	v_fmac_f32_e32 v80, v26, v64
	v_fma_f32 v27, v27, v64, -v65
	v_fmac_f32_e32 v81, v28, v66
	;; [unrolled: 2-line block ×3, first 2 shown]
	v_fma_f32 v35, v73, v68, -v69
	v_dual_sub_f32 v6, v56, v74 :: v_dual_sub_f32 v7, v57, v7
	v_dual_sub_f32 v8, v54, v75 :: v_dual_sub_f32 v9, v55, v9
	;; [unrolled: 1-line block ×4, first 2 shown]
	v_sub_f32_e32 v15, v23, v15
	v_dual_sub_f32 v16, v24, v79 :: v_dual_sub_f32 v17, v25, v17
	v_dual_sub_f32 v26, v70, v80 :: v_dual_sub_f32 v27, v71, v27
	v_sub_f32_e32 v28, v30, v81
	v_dual_sub_f32 v29, v31, v29 :: v_dual_sub_f32 v34, v32, v82
	v_sub_f32_e32 v35, v33, v35
	v_fma_f32 v41, v56, 2.0, -v6
	v_fma_f32 v42, v57, 2.0, -v7
	;; [unrolled: 1-line block ×18, first 2 shown]
	ds_store_b64 v52, v[6:7] offset:7128
	ds_store_b64 v52, v[41:42]
	ds_store_b64 v37, v[50:51]
	ds_store_b64 v37, v[8:9] offset:7128
	ds_store_2addr_b64 v40, v[18:19], v[20:21] offset0:70 offset1:169
	ds_store_2addr_b64 v43, v[10:11], v[12:13] offset0:65 offset1:164
	;; [unrolled: 1-line block ×4, first 2 shown]
	ds_store_b64 v36, v[54:55] offset:4752
	ds_store_b64 v36, v[26:27] offset:11880
	ds_store_2addr_b64 v38, v[30:31], v[32:33] offset0:53 offset1:152
	ds_store_2addr_b64 v53, v[28:29], v[34:35] offset0:48 offset1:147
	global_wb scope:SCOPE_SE
	s_wait_dscnt 0x0
	s_barrier_signal -1
	s_barrier_wait -1
	global_inv scope:SCOPE_SE
	ds_load_b64 v[8:9], v52
	v_lshlrev_b32_e32 v6, 3, v46
                                        ; implicit-def: $vgpr11
                                        ; implicit-def: $vgpr12
	s_delay_alu instid0(VALU_DEP_1)
	v_sub_nc_u32_e32 v10, 0, v6
                                        ; implicit-def: $vgpr6
	s_and_saveexec_b32 s1, s0
	s_wait_alu 0xfffe
	s_xor_b32 s0, exec_lo, s1
	s_cbranch_execz .LBB0_17
; %bb.16:
	global_load_b64 v[4:5], v[4:5], off offset:14168
	ds_load_b64 v[6:7], v10 offset:14256
	s_wait_dscnt 0x0
	v_dual_sub_f32 v11, v8, v6 :: v_dual_add_f32 v12, v7, v9
	v_dual_sub_f32 v7, v9, v7 :: v_dual_add_f32 v6, v6, v8
	s_delay_alu instid0(VALU_DEP_2) | instskip(SKIP_1) | instid1(VALU_DEP_1)
	v_dual_mul_f32 v9, 0.5, v11 :: v_dual_mul_f32 v8, 0.5, v12
	s_wait_loadcnt 0x0
	v_dual_mul_f32 v7, 0.5, v7 :: v_dual_mul_f32 v12, v5, v9
	s_delay_alu instid0(VALU_DEP_1) | instskip(SKIP_1) | instid1(VALU_DEP_3)
	v_fma_f32 v13, v8, v5, v7
	v_fma_f32 v5, v8, v5, -v7
	v_fma_f32 v11, 0.5, v6, v12
	v_fma_f32 v6, v6, 0.5, -v12
	s_delay_alu instid0(VALU_DEP_4) | instskip(NEXT) | instid1(VALU_DEP_4)
	v_fma_f32 v12, -v4, v9, v13
	v_fma_f32 v7, -v4, v9, v5
	s_delay_alu instid0(VALU_DEP_4) | instskip(NEXT) | instid1(VALU_DEP_4)
	v_fmac_f32_e32 v11, v4, v8
	v_fma_f32 v6, -v4, v8, v6
                                        ; implicit-def: $vgpr8_vgpr9
.LBB0_17:
	s_wait_alu 0xfffe
	s_and_not1_saveexec_b32 s0, s0
	s_cbranch_execz .LBB0_19
; %bb.18:
	s_wait_dscnt 0x0
	v_dual_mov_b32 v12, 0 :: v_dual_add_f32 v11, v8, v9
	v_dual_sub_f32 v6, v8, v9 :: v_dual_mov_b32 v7, 0
	ds_load_b32 v4, v12 offset:7132
	s_wait_dscnt 0x0
	v_xor_b32_e32 v4, 0x80000000, v4
	ds_store_b32 v12, v4 offset:7132
.LBB0_19:
	s_wait_alu 0xfffe
	s_or_b32 exec_lo, exec_lo, s0
	global_load_b64 v[2:3], v[2:3], off offset:14168
	s_add_nc_u64 s[0:1], s[8:9], 0x3758
	s_wait_alu 0xfffe
	v_add_co_u32 v0, s0, s0, v0
	s_wait_alu 0xf1ff
	v_add_co_ci_u32_e64 v1, s0, s1, v1, s0
	global_load_b64 v[4:5], v[0:1], off offset:1584
	s_wait_dscnt 0x0
	s_clause 0x3
	global_load_b64 v[8:9], v[0:1], off offset:2376
	global_load_b64 v[13:14], v[0:1], off offset:3168
	;; [unrolled: 1-line block ×4, first 2 shown]
	ds_store_2addr_b32 v52, v11, v12 offset1:1
	ds_store_b64 v10, v[6:7] offset:14256
	global_load_b64 v[6:7], v[0:1], off offset:5544
	ds_load_b64 v[11:12], v37
	ds_load_b64 v[19:20], v10 offset:13464
	global_load_b64 v[0:1], v[0:1], off offset:6336
	s_wait_dscnt 0x0
	v_dual_sub_f32 v21, v11, v19 :: v_dual_add_f32 v22, v12, v20
	v_dual_sub_f32 v12, v12, v20 :: v_dual_add_f32 v11, v11, v19
	s_delay_alu instid0(VALU_DEP_2) | instskip(NEXT) | instid1(VALU_DEP_2)
	v_dual_mul_f32 v20, 0.5, v21 :: v_dual_mul_f32 v21, 0.5, v22
	v_mul_f32_e32 v12, 0.5, v12
	s_wait_loadcnt 0x7
	s_delay_alu instid0(VALU_DEP_2) | instskip(NEXT) | instid1(VALU_DEP_2)
	v_mul_f32_e32 v19, v3, v20
	v_fma_f32 v22, v21, v3, v12
	v_fma_f32 v3, v21, v3, -v12
	s_delay_alu instid0(VALU_DEP_3) | instskip(NEXT) | instid1(VALU_DEP_2)
	v_fma_f32 v12, 0.5, v11, v19
	v_fma_f32 v3, -v2, v20, v3
	s_delay_alu instid0(VALU_DEP_2) | instskip(SKIP_2) | instid1(VALU_DEP_2)
	v_fmac_f32_e32 v12, v2, v21
	v_fma_f32 v11, v11, 0.5, -v19
	v_fma_f32 v19, -v2, v20, v22
	v_fma_f32 v2, -v2, v21, v11
	ds_store_2addr_b32 v37, v12, v19 offset1:1
	ds_store_b64 v10, v[2:3] offset:13464
	ds_load_b64 v[2:3], v36 offset:1584
	ds_load_b64 v[11:12], v10 offset:12672
	s_wait_dscnt 0x0
	v_dual_sub_f32 v19, v2, v11 :: v_dual_add_f32 v20, v3, v12
	v_dual_sub_f32 v3, v3, v12 :: v_dual_add_f32 v2, v2, v11
	s_delay_alu instid0(VALU_DEP_2) | instskip(NEXT) | instid1(VALU_DEP_2)
	v_mul_f32_e32 v12, 0.5, v19
	v_mul_f32_e32 v3, 0.5, v3
	s_delay_alu instid0(VALU_DEP_4) | instskip(SKIP_1) | instid1(VALU_DEP_3)
	v_mul_f32_e32 v19, 0.5, v20
	s_wait_loadcnt 0x6
	v_mul_f32_e32 v11, v5, v12
	s_delay_alu instid0(VALU_DEP_2) | instskip(SKIP_1) | instid1(VALU_DEP_3)
	v_fma_f32 v20, v19, v5, v3
	v_fma_f32 v3, v19, v5, -v3
	v_fma_f32 v5, 0.5, v2, v11
	v_fma_f32 v2, v2, 0.5, -v11
	s_delay_alu instid0(VALU_DEP_4) | instskip(NEXT) | instid1(VALU_DEP_4)
	v_fma_f32 v11, -v4, v12, v20
	v_fma_f32 v3, -v4, v12, v3
	s_delay_alu instid0(VALU_DEP_4) | instskip(NEXT) | instid1(VALU_DEP_4)
	v_fmac_f32_e32 v5, v4, v19
	v_fma_f32 v2, -v4, v19, v2
	ds_store_b32 v36, v11 offset:1588
	ds_store_b32 v10, v3 offset:12676
	;; [unrolled: 1-line block ×4, first 2 shown]
	ds_load_b64 v[2:3], v36 offset:2376
	ds_load_b64 v[4:5], v10 offset:11880
	s_wait_dscnt 0x0
	v_dual_sub_f32 v11, v2, v4 :: v_dual_add_f32 v12, v3, v5
	v_dual_sub_f32 v3, v3, v5 :: v_dual_add_f32 v2, v2, v4
	s_delay_alu instid0(VALU_DEP_2) | instskip(NEXT) | instid1(VALU_DEP_3)
	v_mul_f32_e32 v5, 0.5, v11
	v_mul_f32_e32 v11, 0.5, v12
	s_wait_loadcnt 0x5
	s_delay_alu instid0(VALU_DEP_2) | instskip(NEXT) | instid1(VALU_DEP_1)
	v_dual_mul_f32 v3, 0.5, v3 :: v_dual_mul_f32 v4, v9, v5
	v_fma_f32 v12, v11, v9, v3
	v_fma_f32 v3, v11, v9, -v3
	s_delay_alu instid0(VALU_DEP_3) | instskip(SKIP_1) | instid1(VALU_DEP_4)
	v_fma_f32 v9, 0.5, v2, v4
	v_fma_f32 v2, v2, 0.5, -v4
	v_fma_f32 v4, -v8, v5, v12
	s_delay_alu instid0(VALU_DEP_4) | instskip(NEXT) | instid1(VALU_DEP_4)
	v_fma_f32 v3, -v8, v5, v3
	v_fmac_f32_e32 v9, v8, v11
	s_delay_alu instid0(VALU_DEP_4)
	v_fma_f32 v2, -v8, v11, v2
	ds_store_b32 v36, v4 offset:2380
	ds_store_b32 v10, v3 offset:11884
	ds_store_b32 v36, v9 offset:2376
	ds_store_b32 v10, v2 offset:11880
	ds_load_b64 v[2:3], v36 offset:3168
	ds_load_b64 v[4:5], v10 offset:11088
	s_wait_dscnt 0x0
	v_dual_sub_f32 v8, v2, v4 :: v_dual_add_f32 v9, v3, v5
	v_dual_sub_f32 v3, v3, v5 :: v_dual_add_f32 v2, v2, v4
	s_delay_alu instid0(VALU_DEP_2) | instskip(SKIP_1) | instid1(VALU_DEP_1)
	v_dual_mul_f32 v5, 0.5, v8 :: v_dual_mul_f32 v8, 0.5, v9
	s_wait_loadcnt 0x4
	v_dual_mul_f32 v3, 0.5, v3 :: v_dual_mul_f32 v4, v14, v5
	s_delay_alu instid0(VALU_DEP_1) | instskip(SKIP_1) | instid1(VALU_DEP_3)
	v_fma_f32 v9, v8, v14, v3
	v_fma_f32 v3, v8, v14, -v3
	v_fma_f32 v11, 0.5, v2, v4
	v_fma_f32 v2, v2, 0.5, -v4
	s_delay_alu instid0(VALU_DEP_4) | instskip(NEXT) | instid1(VALU_DEP_4)
	v_fma_f32 v4, -v13, v5, v9
	v_fma_f32 v3, -v13, v5, v3
	s_delay_alu instid0(VALU_DEP_4) | instskip(NEXT) | instid1(VALU_DEP_4)
	v_fmac_f32_e32 v11, v13, v8
	v_fma_f32 v2, -v13, v8, v2
	ds_store_b32 v36, v4 offset:3172
	ds_store_b32 v10, v3 offset:11092
	ds_store_b32 v36, v11 offset:3168
	ds_store_b32 v10, v2 offset:11088
	ds_load_b64 v[2:3], v36 offset:3960
	ds_load_b64 v[4:5], v10 offset:10296
	s_wait_dscnt 0x0
	v_dual_sub_f32 v8, v2, v4 :: v_dual_add_f32 v9, v3, v5
	v_dual_sub_f32 v3, v3, v5 :: v_dual_add_f32 v2, v2, v4
	s_delay_alu instid0(VALU_DEP_2) | instskip(SKIP_1) | instid1(VALU_DEP_1)
	v_dual_mul_f32 v5, 0.5, v8 :: v_dual_mul_f32 v8, 0.5, v9
	s_wait_loadcnt 0x3
	v_dual_mul_f32 v3, 0.5, v3 :: v_dual_mul_f32 v4, v16, v5
	s_delay_alu instid0(VALU_DEP_1) | instskip(SKIP_1) | instid1(VALU_DEP_3)
	v_fma_f32 v9, v8, v16, v3
	v_fma_f32 v3, v8, v16, -v3
	v_fma_f32 v11, 0.5, v2, v4
	v_fma_f32 v2, v2, 0.5, -v4
	s_delay_alu instid0(VALU_DEP_4) | instskip(NEXT) | instid1(VALU_DEP_4)
	v_fma_f32 v4, -v15, v5, v9
	v_fma_f32 v3, -v15, v5, v3
	s_delay_alu instid0(VALU_DEP_4) | instskip(NEXT) | instid1(VALU_DEP_4)
	v_fmac_f32_e32 v11, v15, v8
	;; [unrolled: 24-line block ×3, first 2 shown]
	v_fma_f32 v2, -v17, v8, v2
	ds_store_b32 v36, v4 offset:4756
	ds_store_b32 v10, v3 offset:9508
	;; [unrolled: 1-line block ×4, first 2 shown]
	ds_load_b64 v[2:3], v52 offset:5544
	ds_load_b64 v[4:5], v10 offset:8712
	s_wait_dscnt 0x0
	v_dual_sub_f32 v8, v2, v4 :: v_dual_add_f32 v9, v3, v5
	v_dual_sub_f32 v3, v3, v5 :: v_dual_add_f32 v2, v2, v4
	s_delay_alu instid0(VALU_DEP_2) | instskip(SKIP_1) | instid1(VALU_DEP_1)
	v_dual_mul_f32 v5, 0.5, v8 :: v_dual_mul_f32 v8, 0.5, v9
	s_wait_loadcnt 0x1
	v_dual_mul_f32 v3, 0.5, v3 :: v_dual_mul_f32 v4, v7, v5
	s_delay_alu instid0(VALU_DEP_1) | instskip(SKIP_1) | instid1(VALU_DEP_3)
	v_fma_f32 v9, v8, v7, v3
	v_fma_f32 v3, v8, v7, -v3
	v_fma_f32 v7, 0.5, v2, v4
	v_fma_f32 v2, v2, 0.5, -v4
	v_add_nc_u32_e32 v4, 0x1400, v52
	v_fma_f32 v9, -v6, v5, v9
	v_fma_f32 v3, -v6, v5, v3
	v_fmac_f32_e32 v7, v6, v8
	v_fma_f32 v2, -v6, v8, v2
	ds_store_2addr_b32 v4, v7, v9 offset0:106 offset1:107
	ds_store_b64 v10, v[2:3] offset:8712
	ds_load_b64 v[2:3], v52 offset:6336
	ds_load_b64 v[4:5], v10 offset:7920
	s_wait_dscnt 0x0
	v_dual_sub_f32 v6, v2, v4 :: v_dual_add_f32 v7, v3, v5
	v_dual_sub_f32 v3, v3, v5 :: v_dual_add_f32 v2, v2, v4
	s_delay_alu instid0(VALU_DEP_2) | instskip(SKIP_1) | instid1(VALU_DEP_1)
	v_dual_mul_f32 v5, 0.5, v6 :: v_dual_mul_f32 v6, 0.5, v7
	s_wait_loadcnt 0x0
	v_dual_mul_f32 v3, 0.5, v3 :: v_dual_mul_f32 v4, v1, v5
	s_delay_alu instid0(VALU_DEP_1) | instskip(SKIP_1) | instid1(VALU_DEP_3)
	v_fma_f32 v7, v6, v1, v3
	v_fma_f32 v1, v6, v1, -v3
	v_fma_f32 v3, 0.5, v2, v4
	v_fma_f32 v2, v2, 0.5, -v4
	v_add_nc_u32_e32 v4, 0x1800, v52
	v_fma_f32 v7, -v0, v5, v7
	v_fma_f32 v1, -v0, v5, v1
	v_fmac_f32_e32 v3, v0, v6
	v_fma_f32 v0, -v0, v6, v2
	ds_store_2addr_b32 v4, v3, v7 offset0:48 offset1:49
	ds_store_b64 v10, v[0:1] offset:7920
	global_wb scope:SCOPE_SE
	s_wait_dscnt 0x0
	s_barrier_signal -1
	s_barrier_wait -1
	global_inv scope:SCOPE_SE
	s_and_saveexec_b32 s0, vcc_lo
	s_cbranch_execz .LBB0_22
; %bb.20:
	v_mul_lo_u32 v2, s3, v48
	v_mul_lo_u32 v3, s2, v49
	v_mad_co_u64_u32 v[0:1], null, s2, v48, 0
	v_dual_mov_b32 v47, 0 :: v_dual_add_nc_u32 v8, 0x63, v46
	v_lshl_add_u32 v22, v46, 3, 0
	v_lshlrev_b64_e32 v[6:7], 3, v[44:45]
	s_delay_alu instid0(VALU_DEP_3) | instskip(SKIP_1) | instid1(VALU_DEP_4)
	v_dual_mov_b32 v9, v47 :: v_dual_add_nc_u32 v10, 0xc6, v46
	v_add3_u32 v1, v1, v3, v2
	v_dual_mov_b32 v11, v47 :: v_dual_add_nc_u32 v16, 0x400, v22
	ds_load_2addr_b64 v[2:5], v22 offset1:99
	v_lshlrev_b64_e32 v[12:13], 3, v[46:47]
	v_lshlrev_b64_e32 v[0:1], 3, v[0:1]
	;; [unrolled: 1-line block ×4, first 2 shown]
	v_dual_mov_b32 v19, v47 :: v_dual_add_nc_u32 v18, 0x18c, v46
	v_add_nc_u32_e32 v20, 0x800, v22
	v_add_co_u32 v0, vcc_lo, s6, v0
	s_wait_alu 0xfffd
	v_add_co_ci_u32_e32 v1, vcc_lo, s7, v1, vcc_lo
	v_add_nc_u32_e32 v23, 0x2400, v22
	s_delay_alu instid0(VALU_DEP_3) | instskip(SKIP_1) | instid1(VALU_DEP_3)
	v_add_co_u32 v0, vcc_lo, v0, v6
	s_wait_alu 0xfffd
	v_add_co_ci_u32_e32 v1, vcc_lo, v1, v7, vcc_lo
	ds_load_2addr_b64 v[6:9], v16 offset0:70 offset1:169
	v_dual_mov_b32 v17, v47 :: v_dual_add_nc_u32 v16, 0x129, v46
	v_add_co_u32 v12, vcc_lo, v0, v12
	s_wait_alu 0xfffd
	v_add_co_ci_u32_e32 v13, vcc_lo, v1, v13, vcc_lo
	v_add_co_u32 v14, vcc_lo, v0, v14
	v_lshlrev_b64_e32 v[16:17], 3, v[16:17]
	s_wait_alu 0xfffd
	v_add_co_ci_u32_e32 v15, vcc_lo, v1, v15, vcc_lo
	v_add_co_u32 v10, vcc_lo, v0, v10
	s_wait_alu 0xfffd
	v_add_co_ci_u32_e32 v11, vcc_lo, v1, v11, vcc_lo
	v_add_co_u32 v16, vcc_lo, v0, v16
	s_wait_alu 0xfffd
	v_add_co_ci_u32_e32 v17, vcc_lo, v1, v17, vcc_lo
	s_wait_dscnt 0x1
	s_clause 0x1
	global_store_b64 v[12:13], v[2:3], off
	global_store_b64 v[14:15], v[4:5], off
	s_wait_dscnt 0x0
	s_clause 0x1
	global_store_b64 v[10:11], v[6:7], off
	global_store_b64 v[16:17], v[8:9], off
	v_lshlrev_b64_e32 v[6:7], 3, v[18:19]
	v_dual_mov_b32 v11, v47 :: v_dual_add_nc_u32 v8, 0x1ef, v46
	v_dual_mov_b32 v9, v47 :: v_dual_add_nc_u32 v16, 0x1000, v22
	ds_load_2addr_b64 v[2:5], v20 offset0:140 offset1:239
	v_add_co_u32 v12, vcc_lo, v0, v6
	v_dual_mov_b32 v17, v47 :: v_dual_add_nc_u32 v10, 0x252, v46
	s_wait_alu 0xfffd
	v_add_co_ci_u32_e32 v13, vcc_lo, v1, v7, vcc_lo
	v_lshlrev_b64_e32 v[14:15], 3, v[8:9]
	ds_load_2addr_b64 v[6:9], v16 offset0:82 offset1:181
	v_add_nc_u32_e32 v16, 0x2b5, v46
	v_lshlrev_b64_e32 v[10:11], 3, v[10:11]
	v_add_nc_u32_e32 v18, 0x318, v46
	v_dual_mov_b32 v21, v47 :: v_dual_add_nc_u32 v20, 0x1800, v22
	v_add_co_u32 v14, vcc_lo, v0, v14
	v_lshlrev_b64_e32 v[16:17], 3, v[16:17]
	s_wait_alu 0xfffd
	v_add_co_ci_u32_e32 v15, vcc_lo, v1, v15, vcc_lo
	v_add_co_u32 v10, vcc_lo, v0, v10
	s_wait_alu 0xfffd
	v_add_co_ci_u32_e32 v11, vcc_lo, v1, v11, vcc_lo
	v_add_co_u32 v16, vcc_lo, v0, v16
	s_wait_alu 0xfffd
	v_add_co_ci_u32_e32 v17, vcc_lo, v1, v17, vcc_lo
	s_wait_dscnt 0x1
	s_clause 0x1
	global_store_b64 v[12:13], v[2:3], off
	global_store_b64 v[14:15], v[4:5], off
	s_wait_dscnt 0x0
	s_clause 0x1
	global_store_b64 v[10:11], v[6:7], off
	global_store_b64 v[16:17], v[8:9], off
	v_mov_b32_e32 v17, v47
	v_lshlrev_b64_e32 v[6:7], 3, v[18:19]
	v_dual_mov_b32 v9, v47 :: v_dual_add_nc_u32 v8, 0x37b, v46
	v_add_nc_u32_e32 v16, 0x1c00, v22
	ds_load_2addr_b64 v[2:5], v20 offset0:24 offset1:123
	v_add_nc_u32_e32 v10, 0x3de, v46
	v_add_co_u32 v12, vcc_lo, v0, v6
	v_mov_b32_e32 v11, v47
	s_wait_alu 0xfffd
	v_add_co_ci_u32_e32 v13, vcc_lo, v1, v7, vcc_lo
	v_lshlrev_b64_e32 v[14:15], 3, v[8:9]
	ds_load_2addr_b64 v[6:9], v16 offset0:94 offset1:193
	v_dual_mov_b32 v25, v47 :: v_dual_add_nc_u32 v16, 0x441, v46
	v_lshlrev_b64_e32 v[10:11], 3, v[10:11]
	v_add_nc_u32_e32 v18, 0x4a4, v46
	v_add_co_u32 v14, vcc_lo, v0, v14
	s_delay_alu instid0(VALU_DEP_4)
	v_lshlrev_b64_e32 v[16:17], 3, v[16:17]
	s_wait_alu 0xfffd
	v_add_co_ci_u32_e32 v15, vcc_lo, v1, v15, vcc_lo
	v_add_co_u32 v10, vcc_lo, v0, v10
	s_wait_alu 0xfffd
	v_add_co_ci_u32_e32 v11, vcc_lo, v1, v11, vcc_lo
	v_add_co_u32 v16, vcc_lo, v0, v16
	v_add_nc_u32_e32 v20, 0x507, v46
	s_wait_alu 0xfffd
	v_add_co_ci_u32_e32 v17, vcc_lo, v1, v17, vcc_lo
	v_lshlrev_b64_e32 v[18:19], 3, v[18:19]
	s_wait_dscnt 0x1
	s_clause 0x1
	global_store_b64 v[12:13], v[2:3], off
	global_store_b64 v[14:15], v[4:5], off
	s_wait_dscnt 0x0
	s_clause 0x1
	global_store_b64 v[10:11], v[6:7], off
	global_store_b64 v[16:17], v[8:9], off
	v_dual_mov_b32 v11, v47 :: v_dual_add_nc_u32 v10, 0x56a, v46
	v_lshlrev_b64_e32 v[6:7], 3, v[20:21]
	v_add_nc_u32_e32 v12, 0x5cd, v46
	v_add_co_u32 v14, vcc_lo, v0, v18
	s_delay_alu instid0(VALU_DEP_4)
	v_lshlrev_b64_e32 v[10:11], 3, v[10:11]
	s_wait_alu 0xfffd
	v_add_co_ci_u32_e32 v15, vcc_lo, v1, v19, vcc_lo
	v_mov_b32_e32 v13, v47
	v_add_co_u32 v16, vcc_lo, v0, v6
	v_add_nc_u32_e32 v24, 0x3000, v22
	v_add_nc_u32_e32 v8, 0x2800, v22
	s_wait_alu 0xfffd
	v_add_co_ci_u32_e32 v17, vcc_lo, v1, v7, vcc_lo
	v_dual_mov_b32 v19, v47 :: v_dual_add_nc_u32 v18, 0x630, v46
	v_add_co_u32 v20, vcc_lo, v0, v10
	ds_load_2addr_b64 v[2:5], v23 offset0:36 offset1:135
	v_lshlrev_b64_e32 v[22:23], 3, v[12:13]
	s_wait_alu 0xfffd
	v_add_co_ci_u32_e32 v21, vcc_lo, v1, v11, vcc_lo
	ds_load_2addr_b64 v[10:13], v24 offset0:48 offset1:147
	v_add_nc_u32_e32 v24, 0x693, v46
	ds_load_2addr_b64 v[6:9], v8 offset0:106 offset1:205
	v_lshlrev_b64_e32 v[18:19], 3, v[18:19]
	v_add_co_u32 v22, vcc_lo, v0, v22
	v_lshlrev_b64_e32 v[24:25], 3, v[24:25]
	s_wait_alu 0xfffd
	v_add_co_ci_u32_e32 v23, vcc_lo, v1, v23, vcc_lo
	s_delay_alu instid0(VALU_DEP_4)
	v_add_co_u32 v18, vcc_lo, v0, v18
	s_wait_alu 0xfffd
	v_add_co_ci_u32_e32 v19, vcc_lo, v1, v19, vcc_lo
	v_add_co_u32 v24, vcc_lo, v0, v24
	s_wait_alu 0xfffd
	v_add_co_ci_u32_e32 v25, vcc_lo, v1, v25, vcc_lo
	v_cmp_eq_u32_e32 vcc_lo, 0x62, v46
	s_wait_dscnt 0x2
	s_clause 0x1
	global_store_b64 v[14:15], v[2:3], off
	global_store_b64 v[16:17], v[4:5], off
	s_wait_dscnt 0x0
	s_clause 0x3
	global_store_b64 v[20:21], v[6:7], off
	global_store_b64 v[22:23], v[8:9], off
	;; [unrolled: 1-line block ×4, first 2 shown]
	s_and_b32 exec_lo, exec_lo, vcc_lo
	s_cbranch_execz .LBB0_22
; %bb.21:
	ds_load_b64 v[2:3], v47 offset:14256
	s_wait_dscnt 0x0
	global_store_b64 v[0:1], v[2:3], off offset:14256
.LBB0_22:
	s_nop 0
	s_sendmsg sendmsg(MSG_DEALLOC_VGPRS)
	s_endpgm
	.section	.rodata,"a",@progbits
	.p2align	6, 0x0
	.amdhsa_kernel fft_rtc_back_len1782_factors_11_3_3_3_3_2_wgs_99_tpt_99_halfLds_sp_op_CI_CI_unitstride_sbrr_R2C_dirReg
		.amdhsa_group_segment_fixed_size 0
		.amdhsa_private_segment_fixed_size 0
		.amdhsa_kernarg_size 104
		.amdhsa_user_sgpr_count 2
		.amdhsa_user_sgpr_dispatch_ptr 0
		.amdhsa_user_sgpr_queue_ptr 0
		.amdhsa_user_sgpr_kernarg_segment_ptr 1
		.amdhsa_user_sgpr_dispatch_id 0
		.amdhsa_user_sgpr_private_segment_size 0
		.amdhsa_wavefront_size32 1
		.amdhsa_uses_dynamic_stack 0
		.amdhsa_enable_private_segment 0
		.amdhsa_system_sgpr_workgroup_id_x 1
		.amdhsa_system_sgpr_workgroup_id_y 0
		.amdhsa_system_sgpr_workgroup_id_z 0
		.amdhsa_system_sgpr_workgroup_info 0
		.amdhsa_system_vgpr_workitem_id 0
		.amdhsa_next_free_vgpr 113
		.amdhsa_next_free_sgpr 39
		.amdhsa_reserve_vcc 1
		.amdhsa_float_round_mode_32 0
		.amdhsa_float_round_mode_16_64 0
		.amdhsa_float_denorm_mode_32 3
		.amdhsa_float_denorm_mode_16_64 3
		.amdhsa_fp16_overflow 0
		.amdhsa_workgroup_processor_mode 1
		.amdhsa_memory_ordered 1
		.amdhsa_forward_progress 0
		.amdhsa_round_robin_scheduling 0
		.amdhsa_exception_fp_ieee_invalid_op 0
		.amdhsa_exception_fp_denorm_src 0
		.amdhsa_exception_fp_ieee_div_zero 0
		.amdhsa_exception_fp_ieee_overflow 0
		.amdhsa_exception_fp_ieee_underflow 0
		.amdhsa_exception_fp_ieee_inexact 0
		.amdhsa_exception_int_div_zero 0
	.end_amdhsa_kernel
	.text
.Lfunc_end0:
	.size	fft_rtc_back_len1782_factors_11_3_3_3_3_2_wgs_99_tpt_99_halfLds_sp_op_CI_CI_unitstride_sbrr_R2C_dirReg, .Lfunc_end0-fft_rtc_back_len1782_factors_11_3_3_3_3_2_wgs_99_tpt_99_halfLds_sp_op_CI_CI_unitstride_sbrr_R2C_dirReg
                                        ; -- End function
	.section	.AMDGPU.csdata,"",@progbits
; Kernel info:
; codeLenInByte = 15760
; NumSgprs: 41
; NumVgprs: 113
; ScratchSize: 0
; MemoryBound: 0
; FloatMode: 240
; IeeeMode: 1
; LDSByteSize: 0 bytes/workgroup (compile time only)
; SGPRBlocks: 5
; VGPRBlocks: 14
; NumSGPRsForWavesPerEU: 41
; NumVGPRsForWavesPerEU: 113
; Occupancy: 12
; WaveLimiterHint : 1
; COMPUTE_PGM_RSRC2:SCRATCH_EN: 0
; COMPUTE_PGM_RSRC2:USER_SGPR: 2
; COMPUTE_PGM_RSRC2:TRAP_HANDLER: 0
; COMPUTE_PGM_RSRC2:TGID_X_EN: 1
; COMPUTE_PGM_RSRC2:TGID_Y_EN: 0
; COMPUTE_PGM_RSRC2:TGID_Z_EN: 0
; COMPUTE_PGM_RSRC2:TIDIG_COMP_CNT: 0
	.text
	.p2alignl 7, 3214868480
	.fill 96, 4, 3214868480
	.type	__hip_cuid_4ce45f9bf8acd3c9,@object ; @__hip_cuid_4ce45f9bf8acd3c9
	.section	.bss,"aw",@nobits
	.globl	__hip_cuid_4ce45f9bf8acd3c9
__hip_cuid_4ce45f9bf8acd3c9:
	.byte	0                               ; 0x0
	.size	__hip_cuid_4ce45f9bf8acd3c9, 1

	.ident	"AMD clang version 19.0.0git (https://github.com/RadeonOpenCompute/llvm-project roc-6.4.0 25133 c7fe45cf4b819c5991fe208aaa96edf142730f1d)"
	.section	".note.GNU-stack","",@progbits
	.addrsig
	.addrsig_sym __hip_cuid_4ce45f9bf8acd3c9
	.amdgpu_metadata
---
amdhsa.kernels:
  - .args:
      - .actual_access:  read_only
        .address_space:  global
        .offset:         0
        .size:           8
        .value_kind:     global_buffer
      - .offset:         8
        .size:           8
        .value_kind:     by_value
      - .actual_access:  read_only
        .address_space:  global
        .offset:         16
        .size:           8
        .value_kind:     global_buffer
      - .actual_access:  read_only
        .address_space:  global
        .offset:         24
        .size:           8
        .value_kind:     global_buffer
      - .actual_access:  read_only
        .address_space:  global
        .offset:         32
        .size:           8
        .value_kind:     global_buffer
      - .offset:         40
        .size:           8
        .value_kind:     by_value
      - .actual_access:  read_only
        .address_space:  global
        .offset:         48
        .size:           8
        .value_kind:     global_buffer
      - .actual_access:  read_only
        .address_space:  global
        .offset:         56
        .size:           8
        .value_kind:     global_buffer
      - .offset:         64
        .size:           4
        .value_kind:     by_value
      - .actual_access:  read_only
        .address_space:  global
        .offset:         72
        .size:           8
        .value_kind:     global_buffer
      - .actual_access:  read_only
        .address_space:  global
        .offset:         80
        .size:           8
        .value_kind:     global_buffer
      - .actual_access:  read_only
        .address_space:  global
        .offset:         88
        .size:           8
        .value_kind:     global_buffer
      - .actual_access:  write_only
        .address_space:  global
        .offset:         96
        .size:           8
        .value_kind:     global_buffer
    .group_segment_fixed_size: 0
    .kernarg_segment_align: 8
    .kernarg_segment_size: 104
    .language:       OpenCL C
    .language_version:
      - 2
      - 0
    .max_flat_workgroup_size: 99
    .name:           fft_rtc_back_len1782_factors_11_3_3_3_3_2_wgs_99_tpt_99_halfLds_sp_op_CI_CI_unitstride_sbrr_R2C_dirReg
    .private_segment_fixed_size: 0
    .sgpr_count:     41
    .sgpr_spill_count: 0
    .symbol:         fft_rtc_back_len1782_factors_11_3_3_3_3_2_wgs_99_tpt_99_halfLds_sp_op_CI_CI_unitstride_sbrr_R2C_dirReg.kd
    .uniform_work_group_size: 1
    .uses_dynamic_stack: false
    .vgpr_count:     113
    .vgpr_spill_count: 0
    .wavefront_size: 32
    .workgroup_processor_mode: 1
amdhsa.target:   amdgcn-amd-amdhsa--gfx1201
amdhsa.version:
  - 1
  - 2
...

	.end_amdgpu_metadata
